;; amdgpu-corpus repo=ROCm/rocFFT kind=compiled arch=gfx1201 opt=O3
	.text
	.amdgcn_target "amdgcn-amd-amdhsa--gfx1201"
	.amdhsa_code_object_version 6
	.protected	bluestein_single_fwd_len663_dim1_sp_op_CI_CI ; -- Begin function bluestein_single_fwd_len663_dim1_sp_op_CI_CI
	.globl	bluestein_single_fwd_len663_dim1_sp_op_CI_CI
	.p2align	8
	.type	bluestein_single_fwd_len663_dim1_sp_op_CI_CI,@function
bluestein_single_fwd_len663_dim1_sp_op_CI_CI: ; @bluestein_single_fwd_len663_dim1_sp_op_CI_CI
; %bb.0:
	s_load_b128 s[8:11], s[0:1], 0x28
	v_mul_u32_u24_e32 v1, 0x506, v0
	s_mov_b32 s2, exec_lo
	v_mov_b32_e32 v77, 0
	s_delay_alu instid0(VALU_DEP_2) | instskip(NEXT) | instid1(VALU_DEP_1)
	v_lshrrev_b32_e32 v1, 16, v1
	v_add_nc_u32_e32 v76, ttmp9, v1
	s_wait_kmcnt 0x0
	s_delay_alu instid0(VALU_DEP_1)
	v_cmpx_gt_u64_e64 s[8:9], v[76:77]
	s_cbranch_execz .LBB0_23
; %bb.1:
	s_clause 0x1
	s_load_b64 s[8:9], s[0:1], 0x0
	s_load_b64 s[12:13], s[0:1], 0x38
	v_mul_lo_u16 v1, v1, 51
	s_delay_alu instid0(VALU_DEP_1) | instskip(NEXT) | instid1(VALU_DEP_1)
	v_sub_nc_u16 v0, v0, v1
	v_and_b32_e32 v96, 0xffff, v0
	v_cmp_gt_u16_e32 vcc_lo, 39, v0
	s_delay_alu instid0(VALU_DEP_2)
	v_lshlrev_b32_e32 v95, 3, v96
	s_and_saveexec_b32 s3, vcc_lo
	s_cbranch_execz .LBB0_3
; %bb.2:
	s_load_b64 s[4:5], s[0:1], 0x18
	s_delay_alu instid0(VALU_DEP_1)
	v_add_nc_u32_e32 v70, 0x400, v95
	v_add_nc_u32_e32 v72, 0x1000, v95
	;; [unrolled: 1-line block ×3, first 2 shown]
	s_wait_kmcnt 0x0
	s_load_b128 s[4:7], s[4:5], 0x0
	s_wait_kmcnt 0x0
	v_mad_co_u64_u32 v[0:1], null, s6, v76, 0
	v_mad_co_u64_u32 v[2:3], null, s4, v96, 0
	s_delay_alu instid0(VALU_DEP_1) | instskip(NEXT) | instid1(VALU_DEP_1)
	v_mad_co_u64_u32 v[4:5], null, s7, v76, v[1:2]
	v_mad_co_u64_u32 v[5:6], null, s5, v96, v[3:4]
	v_mov_b32_e32 v1, v4
	s_mul_u64 s[4:5], s[4:5], 0x138
	s_delay_alu instid0(VALU_DEP_1) | instskip(NEXT) | instid1(VALU_DEP_3)
	v_lshlrev_b64_e32 v[0:1], 3, v[0:1]
	v_mov_b32_e32 v3, v5
	s_delay_alu instid0(VALU_DEP_1) | instskip(NEXT) | instid1(VALU_DEP_3)
	v_lshlrev_b64_e32 v[2:3], 3, v[2:3]
	v_add_co_u32 v10, s2, s10, v0
	s_delay_alu instid0(VALU_DEP_1)
	v_add_co_ci_u32_e64 v11, s2, s11, v1, s2
	s_clause 0x3
	global_load_b64 v[0:1], v95, s[8:9]
	global_load_b64 v[4:5], v95, s[8:9] offset:312
	global_load_b64 v[6:7], v95, s[8:9] offset:624
	;; [unrolled: 1-line block ×3, first 2 shown]
	v_add_co_u32 v2, s2, v10, v2
	s_wait_alu 0xf1ff
	v_add_co_ci_u32_e64 v3, s2, v11, v3, s2
	s_clause 0x3
	global_load_b64 v[12:13], v95, s[8:9] offset:1248
	global_load_b64 v[14:15], v95, s[8:9] offset:1560
	;; [unrolled: 1-line block ×4, first 2 shown]
	s_wait_alu 0xfffe
	v_add_co_u32 v10, s2, v2, s4
	s_wait_alu 0xf1ff
	v_add_co_ci_u32_e64 v11, s2, s5, v3, s2
	s_clause 0x3
	global_load_b64 v[22:23], v95, s[8:9] offset:2496
	global_load_b64 v[24:25], v95, s[8:9] offset:2808
	;; [unrolled: 1-line block ×4, first 2 shown]
	v_add_co_u32 v20, s2, v10, s4
	s_wait_alu 0xf1ff
	v_add_co_ci_u32_e64 v21, s2, s5, v11, s2
	s_clause 0x2
	global_load_b64 v[32:33], v95, s[8:9] offset:3744
	global_load_b64 v[34:35], v95, s[8:9] offset:4056
	;; [unrolled: 1-line block ×3, first 2 shown]
	v_add_co_u32 v30, s2, v20, s4
	s_wait_alu 0xf1ff
	v_add_co_ci_u32_e64 v31, s2, s5, v21, s2
	s_delay_alu instid0(VALU_DEP_2) | instskip(SKIP_1) | instid1(VALU_DEP_2)
	v_add_co_u32 v38, s2, v30, s4
	s_wait_alu 0xf1ff
	v_add_co_ci_u32_e64 v39, s2, s5, v31, s2
	s_clause 0x3
	global_load_b64 v[2:3], v[2:3], off
	global_load_b64 v[10:11], v[10:11], off
	global_load_b64 v[20:21], v[20:21], off
	global_load_b64 v[30:31], v[30:31], off
	v_add_co_u32 v40, s2, v38, s4
	s_wait_alu 0xf1ff
	v_add_co_ci_u32_e64 v41, s2, s5, v39, s2
	global_load_b64 v[38:39], v[38:39], off
	v_add_co_u32 v42, s2, v40, s4
	s_wait_alu 0xf1ff
	v_add_co_ci_u32_e64 v43, s2, s5, v41, s2
	global_load_b64 v[40:41], v[40:41], off
	;; [unrolled: 4-line block ×11, first 2 shown]
	v_add_co_u32 v62, s2, v60, s4
	s_wait_alu 0xf1ff
	v_add_co_ci_u32_e64 v63, s2, s5, v61, s2
	global_load_b64 v[64:65], v95, s[8:9] offset:4680
	global_load_b64 v[60:61], v[60:61], off
	global_load_b64 v[66:67], v95, s[8:9] offset:4992
	global_load_b64 v[62:63], v[62:63], off
	s_wait_loadcnt 0x12
	v_mul_f32_e32 v68, v3, v1
	v_mul_f32_e32 v69, v2, v1
	s_wait_loadcnt 0x11
	s_delay_alu instid0(VALU_DEP_2) | instskip(NEXT) | instid1(VALU_DEP_2)
	v_dual_mul_f32 v1, v11, v5 :: v_dual_fmac_f32 v68, v2, v0
	v_fma_f32 v69, v3, v0, -v69
	s_wait_loadcnt 0x10
	v_dual_mul_f32 v0, v10, v5 :: v_dual_mul_f32 v3, v21, v7
	s_delay_alu instid0(VALU_DEP_3) | instskip(NEXT) | instid1(VALU_DEP_2)
	v_fmac_f32_e32 v1, v10, v4
	v_fma_f32 v2, v11, v4, -v0
	s_wait_loadcnt 0xe
	v_dual_mul_f32 v0, v39, v13 :: v_dual_mul_f32 v7, v20, v7
	v_fmac_f32_e32 v3, v20, v6
	ds_store_2addr_b64 v95, v[68:69], v[1:2] offset1:39
	s_wait_loadcnt 0xd
	v_dual_mul_f32 v2, v41, v15 :: v_dual_mul_f32 v5, v31, v9
	v_mul_f32_e32 v9, v30, v9
	v_fmac_f32_e32 v0, v38, v12
	v_fma_f32 v4, v21, v6, -v7
	s_delay_alu instid0(VALU_DEP_4) | instskip(NEXT) | instid1(VALU_DEP_4)
	v_dual_fmac_f32 v2, v40, v14 :: v_dual_fmac_f32 v5, v30, v8
	v_fma_f32 v6, v31, v8, -v9
	s_wait_loadcnt 0xa
	v_dual_mul_f32 v7, v38, v13 :: v_dual_mul_f32 v8, v47, v23
	v_mul_f32_e32 v9, v46, v23
	ds_store_2addr_b64 v95, v[3:4], v[5:6] offset0:78 offset1:117
	v_dual_mul_f32 v4, v43, v17 :: v_dual_mul_f32 v3, v40, v15
	v_fma_f32 v1, v39, v12, -v7
	v_mul_f32_e32 v6, v45, v19
	s_delay_alu instid0(VALU_DEP_3) | instskip(NEXT) | instid1(VALU_DEP_4)
	v_dual_mul_f32 v7, v44, v19 :: v_dual_fmac_f32 v4, v42, v16
	v_fma_f32 v3, v41, v14, -v3
	v_fmac_f32_e32 v8, v46, v22
	s_delay_alu instid0(VALU_DEP_4)
	v_fmac_f32_e32 v6, v44, v18
	ds_store_2addr_b64 v95, v[0:1], v[2:3] offset0:156 offset1:195
	s_wait_loadcnt 0x9
	v_mul_f32_e32 v1, v48, v25
	v_mul_f32_e32 v0, v49, v25
	;; [unrolled: 1-line block ×3, first 2 shown]
	v_fma_f32 v7, v45, v18, -v7
	s_wait_loadcnt 0x8
	v_mul_f32_e32 v2, v51, v27
	v_fma_f32 v1, v49, v24, -v1
	v_fmac_f32_e32 v0, v48, v24
	v_fma_f32 v5, v43, v16, -v5
	s_wait_loadcnt 0x5
	v_mul_f32_e32 v10, v57, v35
	v_mul_f32_e32 v11, v56, v35
	ds_store_2addr_b64 v70, v[4:5], v[6:7] offset0:106 offset1:145
	v_mul_f32_e32 v5, v52, v29
	v_mul_f32_e32 v6, v55, v33
	;; [unrolled: 1-line block ×3, first 2 shown]
	v_dual_mul_f32 v4, v53, v29 :: v_dual_mul_f32 v3, v50, v27
	v_fmac_f32_e32 v2, v50, v26
	s_wait_loadcnt 0x4
	v_mul_f32_e32 v12, v59, v37
	v_dual_fmac_f32 v10, v56, v34 :: v_dual_mul_f32 v13, v58, v37
	s_wait_loadcnt 0x2
	v_mul_f32_e32 v14, v61, v65
	v_mul_f32_e32 v15, v60, v65
	s_wait_loadcnt 0x0
	v_mul_f32_e32 v17, v62, v67
	v_fmac_f32_e32 v6, v54, v32
	v_mul_f32_e32 v16, v63, v67
	v_fma_f32 v9, v47, v22, -v9
	v_fmac_f32_e32 v4, v52, v28
	v_fma_f32 v3, v51, v26, -v3
	v_fma_f32 v5, v53, v28, -v5
	;; [unrolled: 1-line block ×4, first 2 shown]
	v_fmac_f32_e32 v12, v58, v36
	v_fma_f32 v13, v59, v36, -v13
	v_fmac_f32_e32 v14, v60, v64
	v_fma_f32 v15, v61, v64, -v15
	;; [unrolled: 2-line block ×3, first 2 shown]
	ds_store_2addr_b64 v71, v[8:9], v[0:1] offset0:56 offset1:95
	ds_store_2addr_b64 v71, v[2:3], v[4:5] offset0:134 offset1:173
	;; [unrolled: 1-line block ×4, first 2 shown]
	ds_store_b64 v95, v[16:17] offset:4992
.LBB0_3:
	s_or_b32 exec_lo, exec_lo, s3
	s_clause 0x1
	s_load_b64 s[4:5], s[0:1], 0x20
	s_load_b64 s[2:3], s[0:1], 0x8
	v_mov_b32_e32 v4, 0
	v_mov_b32_e32 v5, 0
	global_wb scope:SCOPE_SE
	s_wait_dscnt 0x0
	s_wait_kmcnt 0x0
	s_barrier_signal -1
	s_barrier_wait -1
	global_inv scope:SCOPE_SE
                                        ; implicit-def: $vgpr22
                                        ; implicit-def: $vgpr16
                                        ; implicit-def: $vgpr12
                                        ; implicit-def: $vgpr8
                                        ; implicit-def: $vgpr0
                                        ; implicit-def: $vgpr26
                                        ; implicit-def: $vgpr30
                                        ; implicit-def: $vgpr34
	s_and_saveexec_b32 s0, vcc_lo
	s_cbranch_execz .LBB0_5
; %bb.4:
	v_add_nc_u32_e32 v0, 0x400, v95
	v_add_nc_u32_e32 v1, 0x800, v95
	;; [unrolled: 1-line block ×3, first 2 shown]
	ds_load_2addr_b64 v[4:7], v95 offset1:39
	ds_load_2addr_b64 v[32:35], v95 offset0:78 offset1:117
	ds_load_2addr_b64 v[28:31], v95 offset0:156 offset1:195
	;; [unrolled: 1-line block ×7, first 2 shown]
	ds_load_b64 v[0:1], v95 offset:4992
.LBB0_5:
	s_wait_alu 0xfffe
	s_or_b32 exec_lo, exec_lo, s0
	s_wait_dscnt 0x0
	v_dual_sub_f32 v101, v7, v1 :: v_dual_add_f32 v36, v0, v6
	v_dual_sub_f32 v103, v6, v0 :: v_dual_sub_f32 v104, v33, v11
	s_delay_alu instid0(VALU_DEP_2) | instskip(SKIP_1) | instid1(VALU_DEP_3)
	v_dual_sub_f32 v105, v32, v10 :: v_dual_mul_f32 v52, 0xbeb8f4ab, v101
	v_add_f32_e32 v37, v1, v7
	v_dual_mul_f32 v57, 0xbf2c7751, v101 :: v_dual_mul_f32 v60, 0xbf2c7751, v103
	v_mul_f32_e32 v54, 0xbeb8f4ab, v103
	s_delay_alu instid0(VALU_DEP_4) | instskip(SKIP_1) | instid1(VALU_DEP_4)
	v_fmamk_f32 v2, v36, 0x3f6eb680, v52
	v_mul_f32_e32 v69, 0xbf65296c, v101
	v_fmamk_f32 v38, v36, 0x3f3d2fb0, v57
	v_fma_f32 v39, 0x3f3d2fb0, v37, -v60
	v_fma_f32 v3, 0x3f6eb680, v37, -v54
	v_mul_f32_e32 v81, 0xbf65296c, v103
	v_dual_mul_f32 v53, 0xbf2c7751, v104 :: v_dual_mul_f32 v56, 0xbf2c7751, v105
	s_delay_alu instid0(VALU_DEP_4)
	v_add_f32_e32 v42, v39, v5
	v_dual_add_f32 v39, v11, v33 :: v_dual_add_f32 v2, v2, v4
	v_dual_fmamk_f32 v40, v36, 0x3ee437d1, v69 :: v_dual_add_f32 v41, v38, v4
	v_add_f32_e32 v3, v3, v5
	v_fma_f32 v43, 0x3ee437d1, v37, -v81
	v_dual_mul_f32 v61, 0xbf7ee86f, v104 :: v_dual_mul_f32 v64, 0xbf7ee86f, v105
	v_fma_f32 v45, 0x3f3d2fb0, v39, -v56
	v_add_f32_e32 v38, v10, v32
	s_delay_alu instid0(VALU_DEP_4) | instskip(SKIP_1) | instid1(VALU_DEP_3)
	v_dual_add_f32 v40, v40, v4 :: v_dual_add_f32 v43, v43, v5
	v_dual_mul_f32 v86, 0xbf4c4adb, v105 :: v_dual_sub_f32 v107, v34, v8
	v_dual_add_f32 v3, v45, v3 :: v_dual_fmamk_f32 v44, v38, 0x3f3d2fb0, v53
	v_fmamk_f32 v46, v38, 0x3dbcf732, v61
	v_mul_f32_e32 v83, 0xbf4c4adb, v104
	v_fma_f32 v47, 0x3dbcf732, v39, -v64
	v_dual_sub_f32 v106, v35, v9 :: v_dual_mul_f32 v59, 0xbf65296c, v107
	v_add_f32_e32 v2, v44, v2
	v_add_f32_e32 v44, v46, v41
	s_delay_alu instid0(VALU_DEP_4) | instskip(NEXT) | instid1(VALU_DEP_4)
	v_dual_fmamk_f32 v41, v38, 0xbf1a4643, v83 :: v_dual_add_f32 v42, v47, v42
	v_mul_f32_e32 v55, 0xbf65296c, v106
	v_fma_f32 v46, 0xbf1a4643, v39, -v86
	s_delay_alu instid0(VALU_DEP_3) | instskip(SKIP_2) | instid1(VALU_DEP_4)
	v_dual_mul_f32 v68, 0xbf4c4adb, v107 :: v_dual_add_f32 v45, v41, v40
	v_dual_add_f32 v41, v9, v35 :: v_dual_add_f32 v40, v8, v34
	v_sub_f32_e32 v109, v29, v15
	v_add_f32_e32 v46, v46, v43
	v_sub_f32_e32 v110, v28, v14
	s_delay_alu instid0(VALU_DEP_4)
	v_fma_f32 v48, 0x3ee437d1, v41, -v59
	v_mul_f32_e32 v66, 0xbf4c4adb, v106
	v_fmamk_f32 v47, v40, 0x3ee437d1, v55
	v_fma_f32 v43, 0xbf1a4643, v41, -v68
	v_mul_f32_e32 v87, 0x3e3c28d5, v106
	v_add_f32_e32 v3, v48, v3
	s_delay_alu instid0(VALU_DEP_4) | instskip(NEXT) | instid1(VALU_DEP_4)
	v_dual_fmamk_f32 v49, v40, 0xbf1a4643, v66 :: v_dual_add_f32 v2, v47, v2
	v_dual_add_f32 v47, v43, v42 :: v_dual_mul_f32 v90, 0x3e3c28d5, v107
	s_delay_alu instid0(VALU_DEP_2) | instskip(SKIP_3) | instid1(VALU_DEP_3)
	v_dual_add_f32 v43, v15, v29 :: v_dual_add_f32 v44, v49, v44
	v_dual_mul_f32 v71, 0xbe3c28d5, v109 :: v_dual_add_f32 v42, v14, v28
	v_mul_f32_e32 v63, 0xbf7ee86f, v110
	v_dual_mul_f32 v82, 0xbe3c28d5, v110 :: v_dual_sub_f32 v115, v30, v12
	v_dual_sub_f32 v114, v31, v13 :: v_dual_fmamk_f32 v51, v42, 0xbf7ba420, v71
	v_mul_f32_e32 v58, 0xbf7ee86f, v109
	s_delay_alu instid0(VALU_DEP_4) | instskip(SKIP_4) | instid1(VALU_DEP_4)
	v_fma_f32 v50, 0x3dbcf732, v43, -v63
	v_fmamk_f32 v48, v40, 0xbf7ba420, v87
	v_mul_f32_e32 v67, 0xbf763a35, v115
	v_mul_f32_e32 v93, 0x3f763a35, v109
	v_fmamk_f32 v49, v42, 0x3dbcf732, v58
	v_dual_add_f32 v3, v50, v3 :: v_dual_add_f32 v48, v48, v45
	v_fma_f32 v45, 0xbf7ba420, v41, -v90
	v_fma_f32 v50, 0xbf7ba420, v43, -v82
	s_delay_alu instid0(VALU_DEP_4) | instskip(SKIP_1) | instid1(VALU_DEP_4)
	v_add_f32_e32 v2, v49, v2
	v_dual_sub_f32 v125, v20, v22 :: v_dual_mul_f32 v136, 0x3f763a35, v107
	v_dual_add_f32 v46, v45, v46 :: v_dual_add_f32 v49, v51, v44
	v_dual_add_f32 v44, v12, v30 :: v_dual_add_f32 v45, v13, v31
	v_dual_add_f32 v50, v50, v47 :: v_dual_mul_f32 v75, 0x3f06c442, v114
	v_sub_f32_e32 v118, v25, v19
	v_mul_f32_e32 v102, 0x3f2c7751, v114
	s_delay_alu instid0(VALU_DEP_4)
	v_fma_f32 v70, 0xbe8c1d8e, v45, -v67
	v_mul_f32_e32 v100, 0x3f763a35, v110
	v_mul_f32_e32 v91, 0x3f06c442, v115
	v_sub_f32_e32 v121, v27, v17
	v_dual_mul_f32 v130, 0x3eb8f4ab, v109 :: v_dual_mul_f32 v137, 0x3eb8f4ab, v110
	v_add_f32_e32 v3, v70, v3
	v_fma_f32 v47, 0xbe8c1d8e, v43, -v100
	v_fmamk_f32 v51, v42, 0xbe8c1d8e, v93
	global_wb scope:SCOPE_SE
	s_barrier_signal -1
	s_barrier_wait -1
	v_add_f32_e32 v72, v47, v46
	v_dual_add_f32 v48, v51, v48 :: v_dual_fmamk_f32 v47, v44, 0xbf59a7d5, v75
	v_mul_f32_e32 v62, 0xbf763a35, v114
	v_add_f32_e32 v46, v18, v24
	global_inv scope:SCOPE_SE
	v_sub_f32_e32 v123, v21, v23
	v_add_f32_e32 v51, v47, v49
	v_fmamk_f32 v65, v44, 0xbe8c1d8e, v62
	v_fma_f32 v49, 0xbf59a7d5, v45, -v91
	v_dual_add_f32 v47, v19, v25 :: v_dual_fmamk_f32 v70, v44, 0x3f3d2fb0, v102
	v_mul_f32_e32 v112, 0x3f2c7751, v115
	s_delay_alu instid0(VALU_DEP_4) | instskip(SKIP_3) | instid1(VALU_DEP_3)
	v_add_f32_e32 v2, v65, v2
	v_mul_f32_e32 v65, 0xbf4c4adb, v118
	v_sub_f32_e32 v120, v24, v18
	v_dual_add_f32 v50, v49, v50 :: v_dual_add_f32 v79, v70, v48
	v_dual_add_f32 v48, v16, v26 :: v_dual_fmamk_f32 v73, v46, 0xbf1a4643, v65
	s_delay_alu instid0(VALU_DEP_3) | instskip(SKIP_1) | instid1(VALU_DEP_3)
	v_dual_mul_f32 v89, 0x3f763a35, v118 :: v_dual_mul_f32 v98, 0x3f763a35, v120
	v_mul_f32_e32 v74, 0xbf4c4adb, v120
	v_dual_mul_f32 v131, 0xbf7ee86f, v103 :: v_dual_add_f32 v2, v73, v2
	s_delay_alu instid0(VALU_DEP_3) | instskip(SKIP_1) | instid1(VALU_DEP_4)
	v_fmamk_f32 v73, v46, 0xbe8c1d8e, v89
	v_sub_f32_e32 v122, v26, v16
	v_fma_f32 v49, 0xbf1a4643, v47, -v74
	v_fma_f32 v77, 0xbe8c1d8e, v47, -v98
	v_mul_f32_e32 v139, 0xbf06c442, v120
	v_dual_add_f32 v73, v73, v51 :: v_dual_mul_f32 v70, 0xbf06c442, v121
	v_mul_f32_e32 v85, 0xbf06c442, v122
	v_add_f32_e32 v3, v49, v3
	v_add_f32_e32 v49, v17, v27
	s_delay_alu instid0(VALU_DEP_4) | instskip(SKIP_2) | instid1(VALU_DEP_3)
	v_dual_add_f32 v77, v77, v50 :: v_dual_fmamk_f32 v78, v48, 0xbf59a7d5, v70
	v_dual_mul_f32 v92, 0x3f65296c, v121 :: v_dual_mul_f32 v97, 0x3f65296c, v122
	v_dual_add_f32 v50, v22, v20 :: v_dual_add_f32 v51, v23, v21
	v_add_f32_e32 v2, v78, v2
	v_fma_f32 v78, 0xbf59a7d5, v49, -v85
	s_delay_alu instid0(VALU_DEP_4)
	v_fmamk_f32 v80, v48, 0x3ee437d1, v92
	v_mul_f32_e32 v88, 0xbe3c28d5, v125
	v_mul_f32_e32 v84, 0xbe3c28d5, v123
	v_dual_mul_f32 v94, 0x3eb8f4ab, v123 :: v_dual_mul_f32 v99, 0x3eb8f4ab, v125
	v_add_f32_e32 v3, v78, v3
	v_fma_f32 v78, 0x3ee437d1, v49, -v97
	v_fma_f32 v108, 0xbf7ba420, v51, -v88
	v_add_f32_e32 v73, v80, v73
	v_mul_f32_e32 v111, 0xbeb8f4ab, v118
	v_dual_mul_f32 v126, 0xbf7ee86f, v101 :: v_dual_mul_f32 v117, 0xbf7ee86f, v122
	s_delay_alu instid0(VALU_DEP_4) | instskip(SKIP_4) | instid1(VALU_DEP_4)
	v_dual_add_f32 v141, v78, v77 :: v_dual_add_f32 v78, v108, v3
	v_fma_f32 v3, 0x3f3d2fb0, v45, -v112
	v_fmamk_f32 v80, v50, 0xbf7ba420, v84
	v_mul_f32_e32 v108, 0xbf7ee86f, v121
	v_fma_f32 v119, 0x3dbcf732, v49, -v117
	v_dual_mul_f32 v132, 0x3f2c7751, v125 :: v_dual_add_f32 v3, v3, v72
	s_delay_alu instid0(VALU_DEP_4) | instskip(NEXT) | instid1(VALU_DEP_4)
	v_dual_add_f32 v77, v80, v2 :: v_dual_fmamk_f32 v2, v50, 0x3f6eb680, v94
	v_fmamk_f32 v116, v48, 0x3dbcf732, v108
	v_fmamk_f32 v80, v46, 0x3f6eb680, v111
	v_mul_f32_e32 v113, 0xbeb8f4ab, v120
	v_fma_f32 v148, 0x3f3d2fb0, v51, -v132
	v_mul_f32_e32 v138, 0xbf65296c, v115
	s_delay_alu instid0(VALU_DEP_4) | instskip(NEXT) | instid1(VALU_DEP_4)
	v_dual_mul_f32 v129, 0x3f763a35, v106 :: v_dual_add_f32 v72, v80, v79
	v_fma_f32 v80, 0x3f6eb680, v47, -v113
	v_add_f32_e32 v79, v2, v73
	v_fma_f32 v73, 0x3dbcf732, v37, -v131
	v_mul_f32_e32 v133, 0xbf65296c, v114
	v_fma_f32 v124, 0xbf59a7d5, v47, -v139
	v_add_f32_e32 v2, v80, v3
	v_add_f32_e32 v3, v116, v72
	;; [unrolled: 1-line block ×3, first 2 shown]
	v_mul_f32_e32 v135, 0xbf06c442, v118
	v_mul_f32_e32 v140, 0x3f4c4adb, v122
	v_add_f32_e32 v2, v119, v2
	v_mul_f32_e32 v134, 0xbe3c28d5, v105
	v_fma_f32 v119, 0x3f6eb680, v43, -v137
	v_fma_f32 v142, 0x3f6eb680, v51, -v99
	;; [unrolled: 1-line block ×3, first 2 shown]
	v_mul_f32_e32 v127, 0x3f4c4adb, v121
	v_fma_f32 v116, 0xbf7ba420, v39, -v134
	s_delay_alu instid0(VALU_DEP_1) | instskip(SKIP_1) | instid1(VALU_DEP_1)
	v_dual_mul_f32 v128, 0xbe3c28d5, v104 :: v_dual_add_f32 v73, v116, v73
	v_fma_f32 v116, 0xbe8c1d8e, v41, -v136
	v_dual_fmamk_f32 v80, v38, 0xbf7ba420, v128 :: v_dual_add_f32 v73, v116, v73
	v_fmamk_f32 v72, v36, 0x3dbcf732, v126
	s_delay_alu instid0(VALU_DEP_2) | instskip(NEXT) | instid1(VALU_DEP_2)
	v_dual_mul_f32 v116, 0xbf06c442, v123 :: v_dual_add_f32 v73, v119, v73
	v_add_f32_e32 v72, v72, v4
	v_fma_f32 v119, 0x3ee437d1, v45, -v138
	s_delay_alu instid0(VALU_DEP_2) | instskip(NEXT) | instid1(VALU_DEP_2)
	v_add_f32_e32 v72, v80, v72
	v_dual_fmamk_f32 v80, v40, 0xbe8c1d8e, v129 :: v_dual_add_f32 v73, v119, v73
	v_mul_f32_e32 v119, 0xbf06c442, v125
	s_delay_alu instid0(VALU_DEP_2) | instskip(NEXT) | instid1(VALU_DEP_3)
	v_dual_fmamk_f32 v143, v50, 0xbf59a7d5, v116 :: v_dual_add_f32 v72, v80, v72
	v_dual_fmamk_f32 v80, v42, 0x3f6eb680, v130 :: v_dual_add_f32 v73, v124, v73
	v_mul_f32_e32 v124, 0x3f2c7751, v123
	s_delay_alu instid0(VALU_DEP_4) | instskip(NEXT) | instid1(VALU_DEP_3)
	v_fma_f32 v145, 0xbf59a7d5, v51, -v119
	v_add_f32_e32 v72, v80, v72
	v_fmamk_f32 v80, v44, 0x3ee437d1, v133
	s_delay_alu instid0(VALU_DEP_4) | instskip(NEXT) | instid1(VALU_DEP_2)
	v_dual_add_f32 v144, v144, v73 :: v_dual_fmamk_f32 v147, v50, 0x3f3d2fb0, v124
	v_dual_add_f32 v73, v145, v2 :: v_dual_add_f32 v72, v80, v72
	v_fmamk_f32 v80, v46, 0xbf59a7d5, v135
	s_delay_alu instid0(VALU_DEP_1) | instskip(SKIP_1) | instid1(VALU_DEP_1)
	v_add_f32_e32 v72, v80, v72
	v_fmamk_f32 v80, v48, 0xbf1a4643, v127
	v_add_f32_e32 v146, v80, v72
	v_add_f32_e32 v80, v142, v141
	v_dual_add_f32 v72, v143, v3 :: v_dual_add_f32 v3, v148, v144
	s_delay_alu instid0(VALU_DEP_3)
	v_add_f32_e32 v2, v147, v146
	s_and_saveexec_b32 s0, vcc_lo
	s_cbranch_execz .LBB0_7
; %bb.6:
	v_dual_add_f32 v7, v7, v5 :: v_dual_add_f32 v6, v6, v4
	v_mul_f32_e32 v149, 0xbe3c28d5, v103
	v_mul_f32_e32 v166, 0x3f65296c, v120
	;; [unrolled: 1-line block ×3, first 2 shown]
	s_delay_alu instid0(VALU_DEP_4) | instskip(SKIP_1) | instid1(VALU_DEP_2)
	v_dual_add_f32 v7, v33, v7 :: v_dual_mul_f32 v144, 0x3f2c7751, v110
	v_dual_add_f32 v6, v32, v6 :: v_dual_mul_f32 v145, 0x3eb8f4ab, v105
	v_dual_mul_f32 v142, 0xbe3c28d5, v101 :: v_dual_add_f32 v7, v35, v7
	s_delay_alu instid0(VALU_DEP_2) | instskip(SKIP_1) | instid1(VALU_DEP_3)
	v_dual_mul_f32 v169, 0xbf7ee86f, v107 :: v_dual_add_f32 v6, v34, v6
	v_mul_f32_e32 v141, 0x3eb8f4ab, v104
	v_dual_mul_f32 v34, 0xbf06c442, v106 :: v_dual_add_f32 v7, v29, v7
	v_fmamk_f32 v32, v37, 0xbf7ba420, v149
	s_delay_alu instid0(VALU_DEP_4) | instskip(SKIP_4) | instid1(VALU_DEP_4)
	v_add_f32_e32 v6, v28, v6
	v_fma_f32 v29, 0xbf7ba420, v36, -v142
	v_mul_f32_e32 v146, 0xbf06c442, v107
	v_fma_f32 v33, 0x3f6eb680, v38, -v141
	v_add_f32_e32 v7, v31, v7
	v_dual_fmamk_f32 v28, v39, 0x3f6eb680, v145 :: v_dual_add_f32 v29, v29, v4
	s_delay_alu instid0(VALU_DEP_4) | instskip(SKIP_1) | instid1(VALU_DEP_2)
	v_dual_add_f32 v6, v30, v6 :: v_dual_fmamk_f32 v31, v41, 0xbf59a7d5, v146
	v_dual_add_f32 v30, v32, v5 :: v_dual_mul_f32 v165, 0xbf4c4adb, v115
	v_dual_add_f32 v7, v25, v7 :: v_dual_add_f32 v6, v24, v6
	s_delay_alu instid0(VALU_DEP_2)
	v_dual_add_f32 v25, v33, v29 :: v_dual_add_f32 v24, v28, v30
	v_mul_f32_e32 v35, 0x3f2c7751, v109
	v_fma_f32 v28, 0xbf59a7d5, v40, -v34
	v_mul_f32_e32 v33, 0x3f65296c, v118
	v_add_f32_e32 v188, v26, v6
	v_dual_add_f32 v24, v31, v24 :: v_dual_mul_f32 v31, 0xbf763a35, v121
	s_delay_alu instid0(VALU_DEP_4) | instskip(SKIP_4) | instid1(VALU_DEP_4)
	v_add_f32_e32 v25, v28, v25
	v_fma_f32 v28, 0x3f3d2fb0, v42, -v35
	v_mul_f32_e32 v32, 0xbf4c4adb, v114
	v_dual_mul_f32 v155, 0xbeb8f4ab, v114 :: v_dual_mul_f32 v184, 0xbeb8f4ab, v107
	v_dual_mul_f32 v171, 0xbeb8f4ab, v115 :: v_dual_mul_f32 v160, 0xbeb8f4ab, v106
	v_add_f32_e32 v25, v28, v25
	s_delay_alu instid0(VALU_DEP_4) | instskip(SKIP_3) | instid1(VALU_DEP_4)
	v_fma_f32 v28, 0xbf1a4643, v44, -v32
	v_fmamk_f32 v30, v45, 0xbf1a4643, v165
	v_mul_f32_e32 v177, 0xbf06c442, v110
	v_mul_f32_e32 v187, 0xbf65296c, v110
	v_dual_mul_f32 v150, 0x3f7ee86f, v114 :: v_dual_add_f32 v25, v28, v25
	v_fmamk_f32 v29, v43, 0x3f3d2fb0, v144
	v_fma_f32 v28, 0x3ee437d1, v46, -v33
	v_mul_f32_e32 v179, 0xbf2c7751, v120
	v_mul_f32_e32 v168, 0xbf06c442, v103
	v_dual_mul_f32 v183, 0x3f763a35, v105 :: v_dual_mul_f32 v174, 0x3f763a35, v104
	v_dual_add_f32 v24, v29, v24 :: v_dual_fmamk_f32 v29, v47, 0x3ee437d1, v166
	v_mul_f32_e32 v161, 0xbf06c442, v101
	v_fma_f32 v153, 0x3dbcf732, v44, -v150
	s_delay_alu instid0(VALU_DEP_4) | instskip(NEXT) | instid1(VALU_DEP_4)
	v_fma_f32 v147, 0xbe8c1d8e, v38, -v174
	v_dual_add_f32 v24, v30, v24 :: v_dual_mul_f32 v167, 0xbf763a35, v122
	v_mul_f32_e32 v30, 0x3f7ee86f, v123
	v_mul_f32_e32 v159, 0xbe3c28d5, v122
	s_delay_alu instid0(VALU_DEP_3) | instskip(SKIP_1) | instid1(VALU_DEP_4)
	v_dual_mul_f32 v151, 0xbf763a35, v123 :: v_dual_add_f32 v24, v29, v24
	v_mul_f32_e32 v185, 0x3f06c442, v105
	v_fma_f32 v26, 0x3dbcf732, v50, -v30
	v_fmamk_f32 v29, v49, 0xbe8c1d8e, v167
	v_add_f32_e32 v189, v27, v7
	v_add_f32_e32 v7, v28, v25
	v_fma_f32 v25, 0xbe8c1d8e, v48, -v31
	v_fma_f32 v27, 0xbf59a7d5, v36, -v161
	v_add_f32_e32 v6, v29, v24
	v_mul_f32_e32 v158, 0x3f7ee86f, v125
	v_add_f32_e32 v21, v21, v189
	v_add_f32_e32 v24, v25, v7
	v_fmamk_f32 v25, v37, 0xbf59a7d5, v168
	v_add_f32_e32 v27, v27, v4
	v_fmamk_f32 v7, v51, 0x3dbcf732, v158
	v_dual_add_f32 v21, v23, v21 :: v_dual_fmac_f32 v142, 0xbf7ba420, v36
	s_delay_alu instid0(VALU_DEP_4) | instskip(SKIP_1) | instid1(VALU_DEP_3)
	v_dual_add_f32 v25, v25, v5 :: v_dual_mul_f32 v162, 0x3f65296c, v104
	v_fmac_f32_e32 v33, 0x3ee437d1, v46
	v_add_f32_e32 v17, v17, v21
	v_mul_f32_e32 v152, 0xbf06c442, v109
	v_mul_f32_e32 v178, 0x3f7ee86f, v115
	v_fma_f32 v29, 0x3ee437d1, v38, -v162
	v_mul_f32_e32 v176, 0x3f65296c, v105
	v_mul_f32_e32 v115, 0xbe3c28d5, v115
	;; [unrolled: 1-line block ×4, first 2 shown]
	v_add_f32_e32 v27, v29, v27
	v_fma_f32 v29, 0x3dbcf732, v40, -v163
	v_fmamk_f32 v28, v39, 0x3ee437d1, v176
	v_mul_f32_e32 v107, 0x3f2c7751, v106
	v_fmac_f32_e32 v174, 0xbe8c1d8e, v38
	s_delay_alu instid0(VALU_DEP_4) | instskip(SKIP_4) | instid1(VALU_DEP_4)
	v_dual_fmac_f32 v34, 0xbf59a7d5, v40 :: v_dual_add_f32 v27, v29, v27
	v_mul_f32_e32 v154, 0x3f4c4adb, v109
	v_dual_add_f32 v25, v28, v25 :: v_dual_fmamk_f32 v28, v41, 0x3dbcf732, v169
	v_mul_f32_e32 v170, 0x3f4c4adb, v110
	v_dual_mul_f32 v148, 0x3f2c7751, v121 :: v_dual_add_f32 v7, v7, v6
	v_fma_f32 v29, 0xbf1a4643, v42, -v154
	s_delay_alu instid0(VALU_DEP_4) | instskip(SKIP_1) | instid1(VALU_DEP_3)
	v_dual_add_f32 v25, v28, v25 :: v_dual_mul_f32 v110, 0xbe3c28d5, v114
	v_mul_f32_e32 v114, 0x3f7ee86f, v120
	v_dual_add_f32 v6, v26, v24 :: v_dual_add_f32 v27, v29, v27
	v_fma_f32 v29, 0x3f6eb680, v44, -v155
	v_fmamk_f32 v28, v43, 0xbf1a4643, v170
	v_mul_f32_e32 v109, 0xbf65296c, v109
	v_dual_add_f32 v23, v20, v188 :: v_dual_fmac_f32 v162, 0x3ee437d1, v38
	s_delay_alu instid0(VALU_DEP_4) | instskip(NEXT) | instid1(VALU_DEP_4)
	v_add_f32_e32 v27, v29, v27
	v_dual_add_f32 v25, v28, v25 :: v_dual_fmamk_f32 v28, v45, 0x3f6eb680, v171
	v_mul_f32_e32 v172, 0xbe3c28d5, v120
	v_fma_f32 v120, 0xbf7ba420, v44, -v110
	v_mul_f32_e32 v173, 0xbf4c4adb, v101
	v_add_f32_e32 v21, v22, v23
	s_delay_alu instid0(VALU_DEP_4) | instskip(SKIP_2) | instid1(VALU_DEP_4)
	v_dual_add_f32 v25, v28, v25 :: v_dual_fmamk_f32 v28, v47, 0xbf7ba420, v172
	v_mul_f32_e32 v156, 0xbe3c28d5, v118
	v_fma_f32 v22, 0xbf7ba420, v37, -v149
	v_add_f32_e32 v16, v16, v21
	v_fma_f32 v21, 0x3f6eb680, v39, -v145
	v_add_f32_e32 v25, v28, v25
	v_fma_f32 v29, 0xbf7ba420, v46, -v156
	v_fmac_f32_e32 v154, 0xbf1a4643, v42
	v_add_f32_e32 v16, v18, v16
	v_fma_f32 v18, 0xbf59a7d5, v41, -v146
	s_delay_alu instid0(VALU_DEP_4) | instskip(SKIP_1) | instid1(VALU_DEP_4)
	v_dual_fmac_f32 v156, 0xbf7ba420, v46 :: v_dual_add_f32 v27, v29, v27
	v_fma_f32 v29, 0x3f3d2fb0, v48, -v148
	v_add_f32_e32 v12, v12, v16
	v_fma_f32 v16, 0x3f3d2fb0, v43, -v144
	v_fmac_f32_e32 v148, 0x3f3d2fb0, v48
	s_delay_alu instid0(VALU_DEP_4) | instskip(SKIP_4) | instid1(VALU_DEP_4)
	v_dual_fmac_f32 v141, 0x3f6eb680, v38 :: v_dual_add_f32 v26, v29, v27
	v_fma_f32 v29, 0xbf1a4643, v36, -v173
	v_add_f32_e32 v12, v14, v12
	v_fma_f32 v14, 0xbf1a4643, v45, -v165
	v_fmac_f32_e32 v32, 0xbf1a4643, v44
	v_dual_fmac_f32 v30, 0x3dbcf732, v50 :: v_dual_add_f32 v29, v29, v4
	s_delay_alu instid0(VALU_DEP_4) | instskip(SKIP_1) | instid1(VALU_DEP_3)
	v_dual_add_f32 v8, v8, v12 :: v_dual_add_f32 v17, v19, v17
	v_add_f32_e32 v19, v22, v5
	v_add_f32_e32 v29, v147, v29
	v_fma_f32 v147, 0x3f6eb680, v40, -v160
	s_delay_alu instid0(VALU_DEP_4) | instskip(NEXT) | instid1(VALU_DEP_4)
	v_dual_add_f32 v8, v10, v8 :: v_dual_add_f32 v13, v13, v17
	v_dual_add_f32 v17, v21, v19 :: v_dual_fmac_f32 v160, 0x3f6eb680, v40
	s_delay_alu instid0(VALU_DEP_3) | instskip(SKIP_1) | instid1(VALU_DEP_4)
	v_add_f32_e32 v29, v147, v29
	v_fma_f32 v147, 0xbf59a7d5, v42, -v152
	v_add_f32_e32 v13, v15, v13
	s_delay_alu instid0(VALU_DEP_4) | instskip(NEXT) | instid1(VALU_DEP_3)
	v_dual_add_f32 v15, v18, v17 :: v_dual_fmac_f32 v152, 0xbf59a7d5, v42
	v_dual_add_f32 v0, v0, v8 :: v_dual_add_f32 v29, v147, v29
	v_mul_f32_e32 v147, 0xbf2c7751, v118
	s_delay_alu instid0(VALU_DEP_4) | instskip(NEXT) | instid1(VALU_DEP_4)
	v_dual_fmamk_f32 v180, v47, 0x3f3d2fb0, v179 :: v_dual_add_f32 v9, v9, v13
	v_add_f32_e32 v13, v16, v15
	s_delay_alu instid0(VALU_DEP_4) | instskip(NEXT) | instid1(VALU_DEP_4)
	v_add_f32_e32 v29, v153, v29
	v_fma_f32 v153, 0x3f3d2fb0, v46, -v147
	v_fma_f32 v16, 0x3dbcf732, v45, -v178
	s_delay_alu instid0(VALU_DEP_4) | instskip(SKIP_1) | instid1(VALU_DEP_4)
	v_dual_fmac_f32 v161, 0xbf59a7d5, v36 :: v_dual_add_f32 v12, v14, v13
	v_fma_f32 v13, 0x3ee437d1, v47, -v166
	v_add_f32_e32 v29, v153, v29
	v_mul_f32_e32 v175, 0xbf4c4adb, v103
	v_mul_f32_e32 v103, 0x3f65296c, v123
	;; [unrolled: 1-line block ×3, first 2 shown]
	v_dual_add_f32 v9, v11, v9 :: v_dual_add_f32 v10, v13, v12
	s_delay_alu instid0(VALU_DEP_4) | instskip(SKIP_4) | instid1(VALU_DEP_4)
	v_fmamk_f32 v27, v37, 0xbf1a4643, v175
	v_mul_f32_e32 v164, 0x3f2c7751, v122
	v_fma_f32 v190, 0x3ee437d1, v50, -v103
	v_fmamk_f32 v143, v39, 0xbe8c1d8e, v183
	v_add_f32_e32 v13, v161, v4
	v_dual_add_f32 v27, v27, v5 :: v_dual_fmamk_f32 v28, v49, 0x3f3d2fb0, v164
	v_add_f32_e32 v1, v1, v9
	v_fma_f32 v12, 0xbf59a7d5, v37, -v168
	v_fmac_f32_e32 v31, 0xbe8c1d8e, v48
	s_delay_alu instid0(VALU_DEP_4) | instskip(SKIP_2) | instid1(VALU_DEP_2)
	v_add_f32_e32 v27, v143, v27
	v_dual_fmamk_f32 v143, v41, 0x3f6eb680, v184 :: v_dual_add_f32 v24, v28, v25
	v_fma_f32 v28, 0xbe8c1d8e, v50, -v151
	v_add_f32_e32 v27, v143, v27
	v_fmamk_f32 v143, v43, 0xbf59a7d5, v177
	s_delay_alu instid0(VALU_DEP_1) | instskip(SKIP_3) | instid1(VALU_DEP_3)
	v_add_f32_e32 v27, v143, v27
	v_fmamk_f32 v143, v45, 0x3dbcf732, v178
	v_fmac_f32_e32 v150, 0x3dbcf732, v44
	v_fmac_f32_e32 v163, 0x3dbcf732, v40
	v_add_f32_e32 v27, v143, v27
	v_mul_f32_e32 v143, 0xbe3c28d5, v121
	s_delay_alu instid0(VALU_DEP_2) | instskip(SKIP_1) | instid1(VALU_DEP_3)
	v_dual_add_f32 v27, v180, v27 :: v_dual_fmamk_f32 v180, v49, 0xbf7ba420, v159
	v_mul_f32_e32 v157, 0xbf763a35, v125
	v_fma_f32 v181, 0xbf7ba420, v48, -v143
	s_delay_alu instid0(VALU_DEP_2) | instskip(NEXT) | instid1(VALU_DEP_1)
	v_fmamk_f32 v25, v51, 0xbe8c1d8e, v157
	v_dual_add_f32 v25, v25, v24 :: v_dual_add_f32 v24, v28, v26
	s_delay_alu instid0(VALU_DEP_3)
	v_dual_add_f32 v28, v181, v29 :: v_dual_mul_f32 v181, 0x3f06c442, v104
	v_fmamk_f32 v104, v39, 0xbf59a7d5, v185
	v_add_f32_e32 v26, v180, v27
	v_mul_f32_e32 v180, 0xbf763a35, v101
	v_fmamk_f32 v27, v51, 0x3ee437d1, v153
	v_fma_f32 v105, 0xbf59a7d5, v38, -v181
	v_fmamk_f32 v29, v37, 0xbe8c1d8e, v182
	v_add_f32_e32 v13, v162, v13
	v_fma_f32 v101, 0xbe8c1d8e, v36, -v180
	v_dual_fmac_f32 v180, 0xbe8c1d8e, v36 :: v_dual_add_f32 v27, v27, v26
	v_add_f32_e32 v26, v190, v28
	v_add_f32_e32 v11, v142, v4
	s_delay_alu instid0(VALU_DEP_4) | instskip(SKIP_1) | instid1(VALU_DEP_3)
	v_add_f32_e32 v101, v101, v4
	v_fmac_f32_e32 v151, 0xbe8c1d8e, v50
	v_add_f32_e32 v9, v141, v11
	s_delay_alu instid0(VALU_DEP_3) | instskip(SKIP_2) | instid1(VALU_DEP_4)
	v_add_f32_e32 v101, v105, v101
	v_fma_f32 v105, 0x3f3d2fb0, v40, -v107
	v_fma_f32 v11, 0xbe8c1d8e, v49, -v167
	v_add_f32_e32 v9, v34, v9
	s_delay_alu instid0(VALU_DEP_3) | instskip(SKIP_1) | instid1(VALU_DEP_4)
	v_add_f32_e32 v101, v105, v101
	v_fma_f32 v105, 0x3ee437d1, v42, -v109
	v_add_f32_e32 v8, v11, v10
	v_add_f32_e32 v10, v12, v5
	v_fma_f32 v12, 0x3dbcf732, v51, -v158
	v_fma_f32 v11, 0x3ee437d1, v39, -v176
	v_dual_add_f32 v106, v105, v101 :: v_dual_mul_f32 v101, 0x3f7ee86f, v118
	v_mul_f32_e32 v105, 0xbeb8f4ab, v122
	v_fmamk_f32 v118, v47, 0x3dbcf732, v114
	s_delay_alu instid0(VALU_DEP_4) | instskip(NEXT) | instid1(VALU_DEP_4)
	v_add_f32_e32 v10, v11, v10
	v_add_f32_e32 v120, v120, v106
	v_fma_f32 v122, 0x3dbcf732, v46, -v101
	v_mul_f32_e32 v106, 0xbf4c4adb, v125
	v_add_f32_e32 v29, v29, v5
	v_mul_f32_e32 v125, 0xbf7ba420, v38
	v_fmac_f32_e32 v173, 0xbf1a4643, v36
	v_add_f32_e32 v120, v122, v120
	s_delay_alu instid0(VALU_DEP_4)
	v_dual_fmamk_f32 v122, v51, 0xbf1a4643, v106 :: v_dual_add_f32 v29, v104, v29
	v_fmamk_f32 v104, v41, 0x3f3d2fb0, v186
	v_sub_f32_e32 v125, v125, v128
	v_mul_f32_e32 v128, 0xbe8c1d8e, v40
	v_fma_f32 v11, 0x3dbcf732, v41, -v169
	v_fmac_f32_e32 v101, 0x3dbcf732, v46
	v_dual_add_f32 v29, v104, v29 :: v_dual_fmamk_f32 v104, v43, 0x3ee437d1, v187
	v_fma_f32 v17, 0xbf1a4643, v51, -v106
	s_delay_alu instid0(VALU_DEP_4) | instskip(SKIP_1) | instid1(VALU_DEP_4)
	v_add_f32_e32 v10, v11, v10
	v_fma_f32 v11, 0xbf1a4643, v43, -v170
	v_dual_add_f32 v29, v104, v29 :: v_dual_fmamk_f32 v104, v45, 0xbf7ba420, v115
	v_fmac_f32_e32 v110, 0xbf7ba420, v44
	s_delay_alu instid0(VALU_DEP_3) | instskip(SKIP_1) | instid1(VALU_DEP_4)
	v_add_f32_e32 v10, v11, v10
	v_fma_f32 v11, 0x3f6eb680, v45, -v171
	v_add_f32_e32 v29, v104, v29
	v_mul_f32_e32 v104, 0xbeb8f4ab, v121
	s_delay_alu instid0(VALU_DEP_3) | instskip(SKIP_1) | instid1(VALU_DEP_4)
	v_add_f32_e32 v10, v11, v10
	v_fma_f32 v11, 0xbf7ba420, v47, -v172
	v_add_f32_e32 v29, v118, v29
	s_delay_alu instid0(VALU_DEP_4)
	v_fma_f32 v121, 0x3f6eb680, v48, -v104
	v_fmamk_f32 v118, v49, 0x3f6eb680, v105
	v_fmac_f32_e32 v104, 0x3f6eb680, v48
	v_add_f32_e32 v10, v11, v10
	v_fma_f32 v11, 0x3f3d2fb0, v49, -v164
	v_add_f32_e32 v28, v121, v120
	v_mul_f32_e32 v121, 0x3dbcf732, v36
	v_add_f32_e32 v29, v118, v29
	v_mul_f32_e32 v120, 0x3dbcf732, v37
	v_dual_mul_f32 v118, 0xbf4c4adb, v123 :: v_dual_add_f32 v15, v173, v4
	s_delay_alu instid0(VALU_DEP_4) | instskip(NEXT) | instid1(VALU_DEP_3)
	v_dual_sub_f32 v121, v121, v126 :: v_dual_mul_f32 v126, 0xbe8c1d8e, v41
	v_add_f32_e32 v120, v131, v120
	s_delay_alu instid0(VALU_DEP_3) | instskip(NEXT) | instid1(VALU_DEP_3)
	v_fma_f32 v123, 0xbf1a4643, v50, -v118
	v_dual_fmac_f32 v118, 0xbf1a4643, v50 :: v_dual_add_f32 v121, v121, v4
	s_delay_alu instid0(VALU_DEP_3) | instskip(NEXT) | instid1(VALU_DEP_3)
	v_dual_fmac_f32 v35, 0x3f3d2fb0, v42 :: v_dual_add_f32 v120, v120, v5
	v_add_f32_e32 v28, v123, v28
	s_delay_alu instid0(VALU_DEP_3) | instskip(SKIP_2) | instid1(VALU_DEP_1)
	v_dual_add_f32 v10, v11, v10 :: v_dual_add_f32 v121, v125, v121
	v_dual_sub_f32 v125, v128, v129 :: v_dual_mul_f32 v128, 0x3f6eb680, v42
	v_dual_add_f32 v29, v122, v29 :: v_dual_mul_f32 v122, 0xbf7ba420, v39
	v_dual_add_f32 v9, v35, v9 :: v_dual_add_f32 v122, v134, v122
	s_delay_alu instid0(VALU_DEP_1) | instskip(SKIP_2) | instid1(VALU_DEP_3)
	v_dual_add_f32 v9, v32, v9 :: v_dual_add_f32 v120, v122, v120
	v_add_f32_e32 v122, v136, v126
	v_mul_f32_e32 v126, 0x3f6eb680, v43
	v_dual_add_f32 v14, v33, v9 :: v_dual_fmac_f32 v147, 0x3f3d2fb0, v46
	v_add_f32_e32 v9, v12, v8
	s_delay_alu instid0(VALU_DEP_4) | instskip(NEXT) | instid1(VALU_DEP_4)
	v_add_f32_e32 v120, v122, v120
	v_add_f32_e32 v122, v137, v126
	v_mul_f32_e32 v126, 0x3ee437d1, v45
	v_dual_add_f32 v12, v163, v13 :: v_dual_fmac_f32 v143, 0xbf7ba420, v48
	v_fmac_f32_e32 v155, 0x3f6eb680, v44
	s_delay_alu instid0(VALU_DEP_4) | instskip(NEXT) | instid1(VALU_DEP_4)
	v_add_f32_e32 v120, v122, v120
	v_add_f32_e32 v122, v138, v126
	v_mul_f32_e32 v126, 0xbf59a7d5, v47
	v_add_f32_e32 v12, v154, v12
	v_add_f32_e32 v8, v31, v14
	v_fma_f32 v13, 0xbf1a4643, v37, -v175
	v_add_f32_e32 v120, v122, v120
	v_add_f32_e32 v122, v139, v126
	v_mul_f32_e32 v126, 0xbf1a4643, v49
	s_delay_alu instid0(VALU_DEP_4) | instskip(SKIP_1) | instid1(VALU_DEP_4)
	v_dual_add_f32 v12, v155, v12 :: v_dual_add_f32 v13, v13, v5
	v_fma_f32 v14, 0xbe8c1d8e, v39, -v183
	v_add_f32_e32 v120, v122, v120
	s_delay_alu instid0(VALU_DEP_4) | instskip(SKIP_2) | instid1(VALU_DEP_2)
	v_dual_mul_f32 v122, 0xbf1a4643, v48 :: v_dual_add_f32 v123, v140, v126
	v_dual_mul_f32 v126, 0x3f3d2fb0, v51 :: v_dual_add_f32 v121, v125, v121
	v_dual_sub_f32 v125, v128, v130 :: v_dual_mul_f32 v128, 0x3ee437d1, v44
	v_dual_add_f32 v120, v123, v120 :: v_dual_add_f32 v123, v132, v126
	s_delay_alu instid0(VALU_DEP_2) | instskip(NEXT) | instid1(VALU_DEP_3)
	v_dual_mul_f32 v126, 0x3f3d2fb0, v50 :: v_dual_add_f32 v121, v125, v121
	v_dual_sub_f32 v125, v128, v133 :: v_dual_mul_f32 v128, 0xbf59a7d5, v46
	v_sub_f32_e32 v122, v122, v127
	v_dual_mul_f32 v127, 0xbf1a4643, v39 :: v_dual_add_f32 v8, v30, v8
	s_delay_alu instid0(VALU_DEP_3) | instskip(NEXT) | instid1(VALU_DEP_4)
	v_add_f32_e32 v121, v125, v121
	v_sub_f32_e32 v125, v128, v135
	s_delay_alu instid0(VALU_DEP_3) | instskip(SKIP_1) | instid1(VALU_DEP_3)
	v_dual_fmac_f32 v181, 0xbf59a7d5, v38 :: v_dual_add_f32 v86, v86, v127
	v_dual_mul_f32 v127, 0xbf1a4643, v38 :: v_dual_add_f32 v12, v156, v12
	v_add_f32_e32 v121, v125, v121
	v_mul_f32_e32 v125, 0x3ee437d1, v37
	v_fmac_f32_e32 v103, 0x3ee437d1, v50
	s_delay_alu instid0(VALU_DEP_4) | instskip(SKIP_1) | instid1(VALU_DEP_4)
	v_sub_f32_e32 v83, v127, v83
	v_fmac_f32_e32 v107, 0x3f3d2fb0, v40
	v_dual_add_f32 v12, v148, v12 :: v_dual_add_f32 v81, v81, v125
	v_mul_f32_e32 v125, 0xbf7ba420, v41
	v_fmac_f32_e32 v109, 0x3ee437d1, v42
	s_delay_alu instid0(VALU_DEP_3) | instskip(NEXT) | instid1(VALU_DEP_1)
	v_add_f32_e32 v81, v81, v5
	v_add_f32_e32 v81, v86, v81
	s_delay_alu instid0(VALU_DEP_4) | instskip(NEXT) | instid1(VALU_DEP_1)
	v_add_f32_e32 v86, v90, v125
	v_dual_mul_f32 v90, 0xbe8c1d8e, v43 :: v_dual_add_f32 v81, v86, v81
	s_delay_alu instid0(VALU_DEP_1) | instskip(SKIP_1) | instid1(VALU_DEP_2)
	v_add_f32_e32 v86, v100, v90
	v_mul_f32_e32 v90, 0x3f3d2fb0, v45
	v_dual_mul_f32 v100, 0x3f6eb680, v46 :: v_dual_add_f32 v81, v86, v81
	s_delay_alu instid0(VALU_DEP_2) | instskip(SKIP_1) | instid1(VALU_DEP_2)
	v_dual_add_f32 v86, v112, v90 :: v_dual_add_f32 v121, v122, v121
	v_mul_f32_e32 v122, 0x3ee437d1, v36
	v_dual_mul_f32 v90, 0x3f6eb680, v47 :: v_dual_add_f32 v81, v86, v81
	s_delay_alu instid0(VALU_DEP_2) | instskip(NEXT) | instid1(VALU_DEP_2)
	v_dual_sub_f32 v69, v122, v69 :: v_dual_mul_f32 v122, 0xbf7ba420, v40
	v_add_f32_e32 v86, v113, v90
	s_delay_alu instid0(VALU_DEP_2) | instskip(NEXT) | instid1(VALU_DEP_2)
	v_add_f32_e32 v69, v69, v4
	v_add_f32_e32 v81, v86, v81
	s_delay_alu instid0(VALU_DEP_2) | instskip(SKIP_2) | instid1(VALU_DEP_2)
	v_add_f32_e32 v69, v83, v69
	v_sub_f32_e32 v83, v122, v87
	v_mul_f32_e32 v87, 0xbe8c1d8e, v42
	v_add_f32_e32 v69, v83, v69
	s_delay_alu instid0(VALU_DEP_2) | instskip(SKIP_2) | instid1(VALU_DEP_3)
	v_sub_f32_e32 v83, v87, v93
	v_mul_f32_e32 v87, 0x3f3d2fb0, v44
	v_sub_f32_e32 v93, v126, v124
	v_add_f32_e32 v69, v83, v69
	s_delay_alu instid0(VALU_DEP_3) | instskip(NEXT) | instid1(VALU_DEP_1)
	v_sub_f32_e32 v90, v87, v102
	v_dual_add_f32 v69, v90, v69 :: v_dual_sub_f32 v90, v100, v111
	s_delay_alu instid0(VALU_DEP_4) | instskip(SKIP_1) | instid1(VALU_DEP_3)
	v_add_f32_e32 v86, v93, v121
	v_mul_f32_e32 v93, 0x3f3d2fb0, v37
	v_dual_mul_f32 v100, 0xbf59a7d5, v50 :: v_dual_add_f32 v69, v90, v69
	v_mul_f32_e32 v90, 0x3dbcf732, v39
	s_delay_alu instid0(VALU_DEP_3) | instskip(NEXT) | instid1(VALU_DEP_3)
	v_dual_add_f32 v60, v60, v93 :: v_dual_mul_f32 v93, 0xbf59a7d5, v51
	v_sub_f32_e32 v100, v100, v116
	s_delay_alu instid0(VALU_DEP_3) | instskip(NEXT) | instid1(VALU_DEP_3)
	v_add_f32_e32 v64, v64, v90
	v_add_f32_e32 v60, v60, v5
	s_delay_alu instid0(VALU_DEP_4) | instskip(NEXT) | instid1(VALU_DEP_2)
	v_add_f32_e32 v90, v119, v93
	v_dual_mul_f32 v93, 0xbf1a4643, v41 :: v_dual_add_f32 v60, v64, v60
	v_mul_f32_e32 v64, 0x3f3d2fb0, v36
	s_delay_alu instid0(VALU_DEP_2) | instskip(NEXT) | instid1(VALU_DEP_2)
	v_dual_add_f32 v68, v68, v93 :: v_dual_mul_f32 v93, 0xbf7ba420, v43
	v_sub_f32_e32 v57, v64, v57
	s_delay_alu instid0(VALU_DEP_2) | instskip(NEXT) | instid1(VALU_DEP_3)
	v_add_f32_e32 v60, v68, v60
	v_add_f32_e32 v64, v82, v93
	s_delay_alu instid0(VALU_DEP_3) | instskip(NEXT) | instid1(VALU_DEP_2)
	v_dual_mul_f32 v68, 0xbf59a7d5, v45 :: v_dual_add_f32 v57, v57, v4
	v_add_f32_e32 v60, v64, v60
	s_delay_alu instid0(VALU_DEP_2) | instskip(SKIP_1) | instid1(VALU_DEP_2)
	v_add_f32_e32 v64, v91, v68
	v_mul_f32_e32 v68, 0xbe8c1d8e, v47
	v_dual_mul_f32 v83, 0x3dbcf732, v49 :: v_dual_add_f32 v60, v64, v60
	s_delay_alu instid0(VALU_DEP_1) | instskip(NEXT) | instid1(VALU_DEP_1)
	v_dual_add_f32 v64, v98, v68 :: v_dual_add_f32 v83, v117, v83
	v_dual_add_f32 v60, v64, v60 :: v_dual_add_f32 v81, v83, v81
	v_mul_f32_e32 v83, 0x3dbcf732, v48
	s_delay_alu instid0(VALU_DEP_1) | instskip(NEXT) | instid1(VALU_DEP_1)
	v_dual_mul_f32 v64, 0x3f6eb680, v37 :: v_dual_sub_f32 v83, v83, v108
	v_dual_add_f32 v54, v54, v64 :: v_dual_add_f32 v83, v83, v69
	s_delay_alu instid0(VALU_DEP_4) | instskip(NEXT) | instid1(VALU_DEP_2)
	v_add_f32_e32 v69, v90, v81
	v_dual_mul_f32 v81, 0x3dbcf732, v38 :: v_dual_add_f32 v54, v54, v5
	s_delay_alu instid0(VALU_DEP_1) | instskip(SKIP_1) | instid1(VALU_DEP_2)
	v_sub_f32_e32 v61, v81, v61
	v_mul_f32_e32 v81, 0xbf1a4643, v40
	v_add_f32_e32 v57, v61, v57
	s_delay_alu instid0(VALU_DEP_2) | instskip(NEXT) | instid1(VALU_DEP_1)
	v_sub_f32_e32 v61, v81, v66
	v_dual_mul_f32 v66, 0xbf7ba420, v42 :: v_dual_add_f32 v57, v61, v57
	s_delay_alu instid0(VALU_DEP_1) | instskip(NEXT) | instid1(VALU_DEP_1)
	v_dual_sub_f32 v61, v66, v71 :: v_dual_mul_f32 v66, 0xbf59a7d5, v44
	v_add_f32_e32 v57, v61, v57
	s_delay_alu instid0(VALU_DEP_2) | instskip(NEXT) | instid1(VALU_DEP_1)
	v_sub_f32_e32 v61, v66, v75
	v_dual_mul_f32 v66, 0x3f3d2fb0, v39 :: v_dual_add_f32 v57, v61, v57
	s_delay_alu instid0(VALU_DEP_1) | instskip(NEXT) | instid1(VALU_DEP_1)
	v_dual_add_f32 v56, v56, v66 :: v_dual_mul_f32 v61, 0x3ee437d1, v41
	v_add_f32_e32 v54, v56, v54
	s_delay_alu instid0(VALU_DEP_2) | instskip(NEXT) | instid1(VALU_DEP_1)
	v_dual_add_f32 v56, v59, v61 :: v_dual_mul_f32 v59, 0x3dbcf732, v43
	v_add_f32_e32 v54, v56, v54
	s_delay_alu instid0(VALU_DEP_2) | instskip(NEXT) | instid1(VALU_DEP_1)
	v_dual_add_f32 v56, v63, v59 :: v_dual_mul_f32 v63, 0x3f6eb680, v50
	v_add_f32_e32 v54, v56, v54
	s_delay_alu instid0(VALU_DEP_2) | instskip(SKIP_1) | instid1(VALU_DEP_1)
	v_sub_f32_e32 v63, v63, v94
	v_dual_mul_f32 v61, 0x3f6eb680, v51 :: v_dual_mul_f32 v56, 0x3f6eb680, v36
	v_add_f32_e32 v59, v99, v61
	s_delay_alu instid0(VALU_DEP_2) | instskip(NEXT) | instid1(VALU_DEP_1)
	v_dual_mul_f32 v61, 0xbe8c1d8e, v45 :: v_dual_sub_f32 v52, v56, v52
	v_add_f32_e32 v61, v67, v61
	s_delay_alu instid0(VALU_DEP_2) | instskip(SKIP_1) | instid1(VALU_DEP_3)
	v_dual_mul_f32 v71, 0x3ee437d1, v49 :: v_dual_add_f32 v52, v52, v4
	v_dual_add_f32 v4, v180, v4 :: v_dual_add_f32 v11, v14, v13
	v_add_f32_e32 v54, v61, v54
	s_delay_alu instid0(VALU_DEP_3) | instskip(SKIP_1) | instid1(VALU_DEP_4)
	v_dual_add_f32 v64, v97, v71 :: v_dual_mul_f32 v71, 0xbe8c1d8e, v46
	v_fma_f32 v13, 0x3f6eb680, v41, -v184
	v_add_f32_e32 v4, v181, v4
	v_fma_f32 v14, 0xbe8c1d8e, v51, -v157
	s_delay_alu instid0(VALU_DEP_4) | instskip(SKIP_4) | instid1(VALU_DEP_3)
	v_add_f32_e32 v60, v64, v60
	v_sub_f32_e32 v66, v71, v89
	v_dual_mul_f32 v64, 0x3ee437d1, v48 :: v_dual_add_f32 v11, v13, v11
	v_add_f32_e32 v4, v107, v4
	v_fma_f32 v13, 0xbf59a7d5, v43, -v177
	v_dual_add_f32 v57, v66, v57 :: v_dual_sub_f32 v64, v64, v92
	v_mul_f32_e32 v66, 0x3f3d2fb0, v38
	s_delay_alu instid0(VALU_DEP_4) | instskip(NEXT) | instid1(VALU_DEP_4)
	v_add_f32_e32 v4, v109, v4
	v_add_f32_e32 v13, v13, v11
	;; [unrolled: 1-line block ×3, first 2 shown]
	v_dual_add_f32 v57, v64, v57 :: v_dual_mul_f32 v64, 0xbf1a4643, v47
	v_add_f32_e32 v14, v174, v15
	v_add_f32_e32 v10, v151, v12
	;; [unrolled: 1-line block ×3, first 2 shown]
	v_fma_f32 v13, 0x3f3d2fb0, v47, -v179
	v_add_f32_e32 v56, v74, v64
	v_sub_f32_e32 v64, v66, v53
	v_mul_f32_e32 v66, 0x3ee437d1, v40
	v_add_f32_e32 v53, v59, v60
	v_mul_f32_e32 v60, 0xbf59a7d5, v48
	v_add_f32_e32 v54, v56, v54
	v_add_f32_e32 v59, v64, v52
	v_dual_sub_f32 v55, v66, v55 :: v_dual_add_f32 v52, v63, v57
	v_mul_f32_e32 v57, 0x3dbcf732, v42
	v_fma_f32 v15, 0xbe8c1d8e, v37, -v182
	s_delay_alu instid0(VALU_DEP_3) | instskip(SKIP_1) | instid1(VALU_DEP_4)
	v_dual_add_f32 v12, v13, v12 :: v_dual_add_f32 v55, v55, v59
	v_mul_f32_e32 v59, 0xbe8c1d8e, v44
	v_sub_f32_e32 v57, v57, v58
	s_delay_alu instid0(VALU_DEP_4) | instskip(NEXT) | instid1(VALU_DEP_3)
	v_dual_mul_f32 v58, 0xbf1a4643, v46 :: v_dual_add_f32 v5, v15, v5
	v_dual_add_f32 v4, v110, v4 :: v_dual_sub_f32 v59, v59, v62
	s_delay_alu instid0(VALU_DEP_3) | instskip(SKIP_2) | instid1(VALU_DEP_4)
	v_add_f32_e32 v55, v57, v55
	v_mul_f32_e32 v57, 0xbf7ba420, v50
	v_fma_f32 v13, 0xbf59a7d5, v39, -v185
	v_add_f32_e32 v4, v101, v4
	s_delay_alu instid0(VALU_DEP_4)
	v_dual_add_f32 v14, v160, v14 :: v_dual_add_f32 v23, v59, v55
	v_mul_f32_e32 v61, 0xbf59a7d5, v49
	v_sub_f32_e32 v21, v57, v84
	v_add_f32_e32 v5, v13, v5
	v_fma_f32 v13, 0x3f3d2fb0, v41, -v186
	v_add_f32_e32 v14, v152, v14
	v_add_f32_e32 v56, v85, v61
	v_fma_f32 v15, 0xbf7ba420, v49, -v159
	v_fma_f32 v16, 0x3f6eb680, v49, -v105
	v_add_f32_e32 v5, v13, v5
	v_fma_f32 v13, 0x3ee437d1, v43, -v187
	v_add_f32_e32 v54, v56, v54
	v_mul_f32_e32 v56, 0xbf7ba420, v51
	v_add_f32_e32 v14, v150, v14
	v_add_f32_e32 v12, v15, v12
	v_fma_f32 v15, 0x3ee437d1, v51, -v153
	v_dual_add_f32 v87, v123, v120 :: v_dual_add_f32 v68, v100, v83
	v_add_f32_e32 v56, v88, v56
	v_dual_add_f32 v18, v104, v4 :: v_dual_add_f32 v5, v13, v5
	v_fma_f32 v13, 0xbf7ba420, v45, -v115
	v_add_f32_e32 v14, v147, v14
	s_delay_alu instid0(VALU_DEP_4) | instskip(SKIP_1) | instid1(VALU_DEP_4)
	v_add_f32_e32 v20, v56, v54
	v_sub_f32_e32 v54, v58, v65
	v_add_f32_e32 v5, v13, v5
	v_fma_f32 v13, 0x3dbcf732, v47, -v114
	v_add_f32_e32 v14, v143, v14
	s_delay_alu instid0(VALU_DEP_4) | instskip(NEXT) | instid1(VALU_DEP_3)
	v_dual_add_f32 v22, v54, v23 :: v_dual_sub_f32 v23, v60, v70
	v_add_f32_e32 v5, v13, v5
	v_mul_lo_u16 v13, v96, 17
	s_delay_alu instid0(VALU_DEP_4) | instskip(NEXT) | instid1(VALU_DEP_3)
	v_add_f32_e32 v4, v103, v14
	v_dual_add_f32 v19, v23, v22 :: v_dual_add_f32 v16, v16, v5
	s_delay_alu instid0(VALU_DEP_3) | instskip(SKIP_1) | instid1(VALU_DEP_3)
	v_and_b32_e32 v13, 0xffff, v13
	v_add_f32_e32 v5, v15, v12
	v_dual_add_f32 v19, v21, v19 :: v_dual_add_f32 v12, v118, v18
	s_delay_alu instid0(VALU_DEP_3)
	v_lshlrev_b32_e32 v21, 3, v13
	v_add_f32_e32 v13, v17, v16
	ds_store_2addr_b64 v21, v[0:1], v[19:20] offset1:1
	ds_store_2addr_b64 v21, v[52:53], v[68:69] offset0:2 offset1:3
	ds_store_2addr_b64 v21, v[86:87], v[28:29] offset0:4 offset1:5
	;; [unrolled: 1-line block ×7, first 2 shown]
	ds_store_b64 v21, v[77:78] offset:128
.LBB0_7:
	s_wait_alu 0xfffe
	s_or_b32 exec_lo, exec_lo, s0
	v_and_b32_e32 v0, 0xff, v96
	s_load_b128 s[4:7], s[4:5], 0x0
	global_wb scope:SCOPE_SE
	s_wait_dscnt 0x0
	s_wait_kmcnt 0x0
	s_barrier_signal -1
	s_barrier_wait -1
	v_mul_lo_u16 v0, 0xf1, v0
	global_inv scope:SCOPE_SE
	v_cmp_gt_u16_e64 s0, 17, v96
	v_lshrrev_b16 v33, 12, v0
	s_delay_alu instid0(VALU_DEP_1) | instskip(NEXT) | instid1(VALU_DEP_1)
	v_mul_lo_u16 v0, v33, 17
	v_sub_nc_u16 v0, v96, v0
	s_delay_alu instid0(VALU_DEP_1) | instskip(NEXT) | instid1(VALU_DEP_1)
	v_and_b32_e32 v32, 0xff, v0
	v_mul_u32_u24_e32 v0, 12, v32
	s_delay_alu instid0(VALU_DEP_1)
	v_lshlrev_b32_e32 v0, 3, v0
	s_clause 0x5
	global_load_b128 v[24:27], v0, s[2:3]
	global_load_b128 v[20:23], v0, s[2:3] offset:16
	global_load_b128 v[12:15], v0, s[2:3] offset:32
	;; [unrolled: 1-line block ×5, first 2 shown]
	ds_load_2addr_b64 v[28:31], v95 offset1:51
	ds_load_2addr_b64 v[46:49], v95 offset0:102 offset1:153
	s_wait_loadcnt_dscnt 0x501
	v_dual_mul_f32 v68, v30, v25 :: v_dual_add_nc_u32 v81, 0x800, v95
	ds_load_2addr_b64 v[50:53], v95 offset0:204 offset1:255
	ds_load_2addr_b64 v[54:57], v81 offset0:50 offset1:101
	v_dual_mul_f32 v37, v31, v25 :: v_dual_add_nc_u32 v0, 0xc00, v95
	s_wait_dscnt 0x2
	v_mul_f32_e32 v38, v47, v27
	s_wait_loadcnt 0x4
	v_dual_mul_f32 v69, v46, v27 :: v_dual_mul_f32 v70, v48, v21
	v_mul_f32_e32 v40, v49, v21
	v_fma_f32 v86, v30, v24, -v37
	v_fmac_f32_e32 v68, v31, v24
	s_delay_alu instid0(VALU_DEP_4)
	v_fmac_f32_e32 v69, v47, v26
	s_wait_loadcnt_dscnt 0x301
	v_mul_f32_e32 v43, v52, v13
	ds_load_2addr_b64 v[58:61], v81 offset0:152 offset1:203
	ds_load_2addr_b64 v[62:65], v0 offset0:126 offset1:177
	ds_load_b64 v[66:67], v95 offset:4896
	v_mul_f32_e32 v42, v51, v23
	v_mul_f32_e32 v45, v50, v23
	s_wait_loadcnt_dscnt 0x203
	v_mul_f32_e32 v39, v56, v5
	v_fmac_f32_e32 v43, v53, v12
	v_dual_mul_f32 v44, v53, v13 :: v_dual_mul_f32 v71, v55, v15
	v_dual_mul_f32 v41, v54, v15 :: v_dual_mul_f32 v74, v57, v5
	v_fma_f32 v87, v46, v26, -v38
	v_fmac_f32_e32 v70, v49, v20
	v_fma_f32 v47, v50, v22, -v42
	s_delay_alu instid0(VALU_DEP_4)
	v_fmac_f32_e32 v41, v55, v14
	v_add_f32_e32 v49, v28, v86
	v_fma_f32 v48, v48, v20, -v40
	global_wb scope:SCOPE_SE
	s_wait_loadcnt_dscnt 0x0
	s_barrier_signal -1
	v_dual_fmac_f32 v45, v51, v22 :: v_dual_mul_f32 v36, v58, v7
	v_dual_mul_f32 v82, v61, v17 :: v_dual_mul_f32 v1, v62, v19
	v_dual_mul_f32 v0, v60, v17 :: v_dual_mul_f32 v85, v67, v11
	;; [unrolled: 1-line block ×3, first 2 shown]
	v_mul_f32_e32 v75, v59, v7
	v_dual_mul_f32 v83, v63, v19 :: v_dual_mul_f32 v34, v64, v9
	v_dual_fmac_f32 v39, v57, v4 :: v_dual_fmac_f32 v36, v59, v6
	v_fma_f32 v38, v60, v16, -v82
	v_fma_f32 v30, v66, v10, -v85
	s_delay_alu instid0(VALU_DEP_4) | instskip(SKIP_2) | instid1(VALU_DEP_4)
	v_dual_fmac_f32 v35, v67, v10 :: v_dual_fmac_f32 v34, v65, v8
	v_add_f32_e32 v50, v29, v68
	v_fma_f32 v46, v52, v12, -v44
	v_add_f32_e32 v51, v86, v30
	v_fma_f32 v44, v54, v14, -v71
	v_fma_f32 v42, v56, v4, -v74
	;; [unrolled: 1-line block ×3, first 2 shown]
	v_dual_fmac_f32 v0, v61, v16 :: v_dual_fmac_f32 v1, v63, v18
	v_fma_f32 v37, v62, v18, -v83
	v_fma_f32 v31, v64, v8, -v84
	v_dual_add_f32 v52, v68, v35 :: v_dual_sub_f32 v53, v86, v30
	v_dual_sub_f32 v54, v68, v35 :: v_dual_add_f32 v63, v47, v38
	v_dual_sub_f32 v74, v43, v36 :: v_dual_add_f32 v49, v49, v87
	s_delay_alu instid0(VALU_DEP_4)
	v_dual_add_f32 v50, v50, v69 :: v_dual_add_f32 v55, v87, v31
	v_dual_add_f32 v56, v69, v34 :: v_dual_sub_f32 v57, v87, v31
	v_dual_sub_f32 v58, v69, v34 :: v_dual_add_f32 v59, v48, v37
	v_add_f32_e32 v64, v45, v0
	v_dual_add_f32 v60, v70, v1 :: v_dual_sub_f32 v65, v47, v38
	v_dual_sub_f32 v61, v48, v37 :: v_dual_sub_f32 v66, v45, v0
	v_dual_sub_f32 v62, v70, v1 :: v_dual_add_f32 v75, v44, v42
	v_dual_sub_f32 v71, v46, v40 :: v_dual_sub_f32 v84, v41, v39
	v_mul_f32_e32 v69, 0xbeedf032, v54
	v_dual_mul_f32 v85, 0xbeedf032, v53 :: v_dual_add_f32 v48, v49, v48
	v_dual_mul_f32 v86, 0xbf52af12, v54 :: v_dual_mul_f32 v87, 0xbf52af12, v53
	v_dual_mul_f32 v88, 0xbf7e222b, v54 :: v_dual_mul_f32 v89, 0xbf7e222b, v53
	;; [unrolled: 1-line block ×4, first 2 shown]
	v_dual_add_f32 v49, v50, v70 :: v_dual_fmamk_f32 v70, v52, 0x3f62ad3f, v85
	v_dual_add_f32 v67, v46, v40 :: v_dual_add_f32 v82, v41, v39
	v_dual_add_f32 v68, v43, v36 :: v_dual_sub_f32 v83, v44, v42
	v_dual_mul_f32 v54, 0xbe750f2a, v54 :: v_dual_mul_f32 v53, 0xbe750f2a, v53
	v_dual_mul_f32 v94, 0xbf52af12, v58 :: v_dual_mul_f32 v97, 0xbf52af12, v57
	;; [unrolled: 1-line block ×25, first 2 shown]
	v_fma_f32 v50, 0x3f62ad3f, v51, -v69
	v_fmac_f32_e32 v69, 0x3f62ad3f, v51
	v_fma_f32 v85, 0x3f62ad3f, v52, -v85
	v_fma_f32 v138, 0x3f116cb1, v51, -v86
	v_dual_fmamk_f32 v139, v52, 0x3f116cb1, v87 :: v_dual_fmac_f32 v86, 0x3f116cb1, v51
	v_fma_f32 v87, 0x3f116cb1, v52, -v87
	v_fma_f32 v140, 0x3df6dbef, v51, -v88
	v_dual_fmamk_f32 v141, v52, 0x3df6dbef, v89 :: v_dual_fmac_f32 v88, 0x3df6dbef, v51
	;; [unrolled: 3-line block ×4, first 2 shown]
	v_fma_f32 v93, 0xbf3f9e67, v52, -v93
	v_add_f32_e32 v45, v49, v45
	v_fma_f32 v146, 0xbf788fa5, v51, -v54
	v_dual_fmamk_f32 v147, v52, 0xbf788fa5, v53 :: v_dual_fmac_f32 v54, 0xbf788fa5, v51
	v_fma_f32 v51, 0xbf788fa5, v52, -v53
	v_fma_f32 v52, 0x3f116cb1, v55, -v94
	v_dual_fmamk_f32 v53, v56, 0x3f116cb1, v97 :: v_dual_fmac_f32 v94, 0x3f116cb1, v55
	v_fma_f32 v97, 0x3f116cb1, v56, -v97
	;; [unrolled: 3-line block ×20, first 2 shown]
	v_dual_fmamk_f32 v179, v68, 0x3df6dbef, v129 :: v_dual_fmac_f32 v128, 0x3df6dbef, v67
	v_fma_f32 v180, 0x3f116cb1, v67, -v130
	v_dual_fmamk_f32 v181, v68, 0x3f116cb1, v131 :: v_dual_fmac_f32 v130, 0x3f116cb1, v67
	v_fma_f32 v182, 0xbf788fa5, v67, -v132
	;; [unrolled: 2-line block ×5, first 2 shown]
	v_add_f32_e32 v47, v48, v47
	v_add_f32_e32 v48, v28, v50
	v_dual_add_f32 v49, v29, v70 :: v_dual_add_f32 v50, v28, v69
	v_dual_add_f32 v69, v29, v85 :: v_dual_add_f32 v88, v28, v88
	;; [unrolled: 1-line block ×3, first 2 shown]
	v_add_f32_e32 v90, v28, v90
	v_dual_add_f32 v85, v28, v86 :: v_dual_add_f32 v86, v29, v87
	v_dual_add_f32 v87, v28, v140 :: v_dual_add_f32 v140, v29, v143
	v_add_f32_e32 v138, v29, v141
	v_dual_add_f32 v89, v29, v89 :: v_dual_add_f32 v92, v28, v92
	v_dual_add_f32 v139, v28, v142 :: v_dual_add_f32 v142, v29, v145
	v_add_f32_e32 v91, v29, v91
	v_dual_add_f32 v93, v29, v93 :: v_dual_add_f32 v46, v47, v46
	v_add_f32_e32 v43, v45, v43
	;; [unrolled: 2-line block ×3, first 2 shown]
	v_dual_add_f32 v28, v28, v54 :: v_dual_add_f32 v29, v29, v51
	v_dual_add_f32 v45, v52, v48 :: v_dual_add_f32 v54, v150, v87
	;; [unrolled: 1-line block ×10, first 2 shown]
	v_add_f32_e32 v41, v43, v41
	v_dual_add_f32 v71, v101, v89 :: v_dual_add_f32 v28, v58, v28
	v_dual_add_f32 v89, v154, v141 :: v_dual_add_f32 v90, v155, v142
	;; [unrolled: 1-line block ×4, first 2 shown]
	v_add_f32_e32 v43, v56, v45
	v_dual_add_f32 v45, v57, v47 :: v_dual_add_f32 v56, v162, v85
	v_add_f32_e32 v48, v158, v50
	v_dual_add_f32 v50, v108, v52 :: v_dual_add_f32 v47, v107, v49
	;; [unrolled: 2-line block ×4, first 2 shown]
	v_dual_add_f32 v86, v115, v92 :: v_dual_add_f32 v39, v41, v39
	v_add_f32_e32 v51, v109, v53
	v_dual_add_f32 v53, v161, v69 :: v_dual_add_f32 v28, v62, v28
	v_dual_add_f32 v55, v111, v71 :: v_dual_add_f32 v42, v44, v42
	;; [unrolled: 1-line block ×3, first 2 shown]
	v_add_f32_e32 v71, v165, v90
	v_add_f32_e32 v85, v114, v91
	;; [unrolled: 1-line block ×9, first 2 shown]
	v_dual_add_f32 v54, v172, v56 :: v_dual_add_f32 v43, v61, v45
	v_add_f32_e32 v62, v176, v87
	v_dual_add_f32 v45, v117, v47 :: v_dual_add_f32 v60, v124, v85
	v_dual_add_f32 v47, v169, v49 :: v_dual_add_f32 v28, v66, v28
	v_add_f32_e32 v56, v122, v58
	v_dual_add_f32 v61, v125, v86 :: v_dual_add_f32 v36, v39, v36
	v_dual_mul_f32 v136, 0xbe750f2a, v84 :: v_dual_mul_f32 v137, 0xbe750f2a, v83
	v_fma_f32 v127, 0xbf3f9e67, v68, -v127
	v_fma_f32 v129, 0x3df6dbef, v68, -v129
	;; [unrolled: 1-line block ×3, first 2 shown]
	v_add_f32_e32 v88, v167, v94
	v_dual_add_f32 v49, v119, v51 :: v_dual_add_f32 v0, v36, v0
	v_add_f32_e32 v51, v171, v53
	v_add_f32_e32 v53, v121, v55
	v_dual_add_f32 v55, v173, v57 :: v_dual_add_f32 v58, v174, v70
	v_add_f32_e32 v59, v175, v71
	v_add_f32_e32 v63, v63, v29
	;; [unrolled: 1-line block ×3, first 2 shown]
	v_dual_add_f32 v41, v126, v44 :: v_dual_add_f32 v44, v179, v47
	v_add_f32_e32 v29, v42, v40
	v_fma_f32 v131, 0x3f116cb1, v68, -v131
	v_fma_f32 v135, 0x3f62ad3f, v68, -v135
	;; [unrolled: 1-line block ×3, first 2 shown]
	v_dual_add_f32 v40, v65, v43 :: v_dual_add_f32 v43, v178, v46
	v_add_f32_e32 v0, v0, v1
	v_dual_add_f32 v46, v129, v49 :: v_dual_add_f32 v49, v130, v52
	v_dual_add_f32 v52, v183, v55 :: v_dual_add_f32 v29, v29, v38
	s_delay_alu instid0(VALU_DEP_3) | instskip(SKIP_1) | instid1(VALU_DEP_3)
	v_dual_add_f32 v0, v0, v34 :: v_dual_add_f32 v57, v123, v69
	v_dual_add_f32 v42, v127, v45 :: v_dual_add_f32 v69, v177, v88
	v_dual_add_f32 v29, v29, v37 :: v_dual_fmac_f32 v136, 0xbf788fa5, v75
	v_dual_add_f32 v47, v180, v50 :: v_dual_add_f32 v50, v131, v53
	v_add_f32_e32 v53, v132, v56
	v_dual_add_f32 v55, v184, v58 :: v_dual_mul_f32 v36, 0x3eedf032, v84
	s_delay_alu instid0(VALU_DEP_4) | instskip(SKIP_2) | instid1(VALU_DEP_4)
	v_add_f32_e32 v1, v29, v31
	v_dual_add_f32 v29, v0, v35 :: v_dual_fmamk_f32 v0, v82, 0xbf788fa5, v137
	v_dual_add_f32 v45, v128, v48 :: v_dual_add_f32 v58, v135, v61
	v_fma_f32 v34, 0x3f62ad3f, v75, -v36
	s_delay_alu instid0(VALU_DEP_3) | instskip(SKIP_2) | instid1(VALU_DEP_4)
	v_dual_add_f32 v48, v181, v51 :: v_dual_add_f32 v31, v0, v40
	v_mul_f32_e32 v40, 0xbf29c268, v84
	v_add_f32_e32 v56, v185, v59
	v_add_f32_e32 v34, v34, v43
	v_dual_add_f32 v51, v182, v54 :: v_dual_add_f32 v54, v133, v57
	v_dual_add_f32 v57, v134, v60 :: v_dual_add_f32 v0, v136, v41
	v_fma_f32 v41, 0xbf3f9e67, v75, -v40
	v_fmac_f32_e32 v40, 0xbf3f9e67, v75
	v_dual_mul_f32 v35, 0x3eedf032, v83 :: v_dual_add_f32 v60, v187, v69
	v_dual_add_f32 v59, v186, v62 :: v_dual_fmac_f32 v36, 0x3f62ad3f, v75
	s_delay_alu instid0(VALU_DEP_2) | instskip(SKIP_2) | instid1(VALU_DEP_4)
	v_dual_add_f32 v40, v40, v49 :: v_dual_fmamk_f32 v37, v82, 0x3f62ad3f, v35
	v_add_f32_e32 v62, v67, v63
	v_fma_f32 v38, 0x3f62ad3f, v82, -v35
	v_dual_add_f32 v61, v74, v28 :: v_dual_add_f32 v36, v36, v45
	s_delay_alu instid0(VALU_DEP_4)
	v_add_f32_e32 v35, v37, v44
	v_mul_f32_e32 v44, 0x3f52af12, v84
	v_add_f32_e32 v28, v1, v30
	v_add_f32_e32 v30, v68, v39
	v_fma_f32 v1, 0xbf788fa5, v82, -v137
	v_add_f32_e32 v37, v38, v46
	v_fma_f32 v43, 0x3f116cb1, v75, -v44
	v_fmac_f32_e32 v44, 0x3f116cb1, v75
	v_mul_f32_e32 v39, 0xbf29c268, v83
	v_add_f32_e32 v38, v41, v47
	v_mul_f32_e32 v47, 0xbf6f5d39, v83
	s_barrier_wait -1
	v_dual_add_f32 v44, v44, v53 :: v_dual_add_f32 v1, v1, v42
	v_fmamk_f32 v42, v82, 0xbf3f9e67, v39
	v_fma_f32 v41, 0xbf3f9e67, v82, -v39
	global_inv scope:SCOPE_SE
	v_add_f32_e32 v39, v42, v48
	v_mul_f32_e32 v48, 0xbf6f5d39, v84
	v_dual_fmamk_f32 v49, v82, 0xbeb58ec6, v47 :: v_dual_add_f32 v42, v43, v51
	v_mul_f32_e32 v51, 0x3f7e222b, v83
	s_delay_alu instid0(VALU_DEP_3)
	v_fma_f32 v46, 0xbeb58ec6, v75, -v48
	v_fmac_f32_e32 v48, 0xbeb58ec6, v75
	v_mul_f32_e32 v45, 0x3f52af12, v83
	v_add_f32_e32 v41, v41, v50
	v_fma_f32 v50, 0xbeb58ec6, v82, -v47
	v_add_f32_e32 v46, v46, v55
	s_delay_alu instid0(VALU_DEP_4) | instskip(SKIP_3) | instid1(VALU_DEP_4)
	v_dual_add_f32 v48, v48, v57 :: v_dual_fmamk_f32 v43, v82, 0x3f116cb1, v45
	v_fma_f32 v45, 0x3f116cb1, v82, -v45
	v_fmamk_f32 v53, v82, 0x3df6dbef, v51
	v_add_nc_u32_e32 v83, 0x400, v95
	v_add_f32_e32 v43, v43, v52
	s_delay_alu instid0(VALU_DEP_4)
	v_dual_add_f32 v45, v45, v54 :: v_dual_mul_f32 v52, 0x3f7e222b, v84
	v_add_f32_e32 v47, v49, v56
	v_add_f32_e32 v49, v50, v58
	v_fma_f32 v54, 0x3df6dbef, v82, -v51
	v_add_nc_u32_e32 v82, 0x1000, v95
	v_fma_f32 v50, 0x3df6dbef, v75, -v52
	v_and_b32_e32 v33, 0xffff, v33
	v_dual_fmac_f32 v52, 0x3df6dbef, v75 :: v_dual_add_f32 v51, v53, v60
	v_add_f32_e32 v53, v54, v62
	s_delay_alu instid0(VALU_DEP_4) | instskip(NEXT) | instid1(VALU_DEP_4)
	v_add_f32_e32 v50, v50, v59
	v_mul_u32_u24_e32 v33, 0xdd, v33
	s_delay_alu instid0(VALU_DEP_4) | instskip(NEXT) | instid1(VALU_DEP_2)
	v_add_f32_e32 v52, v52, v61
	v_add_lshl_u32 v97, v33, v32, 3
	ds_store_2addr_b64 v97, v[28:29], v[30:31] offset1:17
	ds_store_2addr_b64 v97, v[34:35], v[38:39] offset0:34 offset1:51
	ds_store_2addr_b64 v97, v[42:43], v[46:47] offset0:68 offset1:85
	;; [unrolled: 1-line block ×5, first 2 shown]
	ds_store_b64 v97, v[0:1] offset:1632
	global_wb scope:SCOPE_SE
	s_wait_dscnt 0x0
	s_barrier_signal -1
	s_barrier_wait -1
	global_inv scope:SCOPE_SE
	ds_load_2addr_b64 v[56:59], v95 offset1:51
	ds_load_2addr_b64 v[68:71], v83 offset0:93 offset1:144
	ds_load_2addr_b64 v[64:67], v81 offset0:186 offset1:237
	;; [unrolled: 1-line block ×5, first 2 shown]
	s_and_saveexec_b32 s1, s0
	s_cbranch_execz .LBB0_9
; %bb.8:
	v_add_nc_u32_e32 v0, 0x600, v95
	ds_load_2addr_b64 v[0:3], v0 offset0:12 offset1:233
	ds_load_b64 v[72:73], v95 offset:5168
.LBB0_9:
	s_wait_alu 0xfffe
	s_or_b32 exec_lo, exec_lo, s1
	v_lshlrev_b32_e32 v28, 4, v96
	global_load_b128 v[36:39], v28, s[2:3] offset:1632
	v_add_nc_u32_e32 v29, 0x330, v28
	global_load_b128 v[44:47], v29, s[2:3] offset:1632
	s_wait_loadcnt_dscnt 0x104
	v_mul_f32_e32 v74, v69, v37
	v_dual_mul_f32 v75, v68, v37 :: v_dual_add_nc_u32 v30, 0x660, v28
	s_wait_dscnt 0x3
	v_dual_mul_f32 v85, v64, v39 :: v_dual_add_nc_u32 v28, 0x990, v28
	v_mul_f32_e32 v84, v65, v39
	v_fma_f32 v68, v68, v36, -v74
	s_wait_loadcnt 0x0
	v_dual_fmac_f32 v75, v69, v36 :: v_dual_mul_f32 v74, v67, v47
	v_fmac_f32_e32 v85, v65, v38
	s_clause 0x1
	global_load_b128 v[40:43], v30, s[2:3] offset:1632
	global_load_b128 v[32:35], v28, s[2:3] offset:1632
	v_add_co_u32 v28, s1, 0xcc, v96
	s_wait_alu 0xf1ff
	v_add_co_ci_u32_e64 v29, null, 0, 0, s1
	v_add_co_u32 v30, s1, 0xffffffef, v96
	s_wait_alu 0xf1ff
	v_add_co_ci_u32_e64 v31, null, 0, -1, s1
	v_mul_f32_e32 v65, v71, v45
	s_delay_alu instid0(VALU_DEP_3) | instskip(SKIP_1) | instid1(VALU_DEP_4)
	v_cndmask_b32_e64 v28, v30, v28, s0
	v_fma_f32 v64, v64, v38, -v84
	v_cndmask_b32_e64 v29, v31, v29, s0
	v_mul_f32_e32 v69, v70, v45
	v_mul_f32_e32 v84, v66, v47
	v_fma_f32 v65, v70, v44, -v65
	v_fma_f32 v66, v66, v46, -v74
	v_lshlrev_b64_e32 v[28:29], 4, v[28:29]
	s_delay_alu instid0(VALU_DEP_1) | instskip(SKIP_1) | instid1(VALU_DEP_2)
	v_add_co_u32 v28, s1, s2, v28
	s_wait_alu 0xf1ff
	v_add_co_ci_u32_e64 v29, s1, s3, v29, s1
	global_load_b128 v[28:31], v[28:29], off offset:1632
	s_wait_loadcnt_dscnt 0x201
	v_mul_f32_e32 v87, v60, v41
	s_wait_dscnt 0x0
	v_dual_mul_f32 v86, v61, v41 :: v_dual_mul_f32 v89, v48, v43
	s_wait_loadcnt 0x1
	v_dual_mul_f32 v88, v49, v43 :: v_dual_mul_f32 v91, v62, v33
	v_mul_f32_e32 v92, v51, v35
	v_dual_mul_f32 v90, v63, v33 :: v_dual_mul_f32 v93, v50, v35
	v_fmac_f32_e32 v69, v71, v44
	v_dual_fmac_f32 v84, v67, v46 :: v_dual_fmac_f32 v87, v61, v40
	v_fma_f32 v67, v60, v40, -v86
	v_fma_f32 v70, v48, v42, -v88
	v_dual_fmac_f32 v89, v49, v42 :: v_dual_add_f32 v48, v56, v68
	v_fma_f32 v71, v50, v34, -v92
	v_dual_add_f32 v50, v57, v75 :: v_dual_add_f32 v49, v68, v64
	v_add_f32_e32 v61, v75, v85
	v_fma_f32 v62, v62, v32, -v90
	v_fmac_f32_e32 v91, v63, v32
	v_dual_fmac_f32 v93, v51, v34 :: v_dual_add_f32 v48, v48, v64
	v_dual_sub_f32 v51, v75, v85 :: v_dual_sub_f32 v74, v69, v84
	v_dual_sub_f32 v63, v68, v64 :: v_dual_add_f32 v86, v53, v87
	v_add_f32_e32 v64, v59, v69
	v_fma_f32 v60, -0.5, v49, v56
	v_dual_add_f32 v49, v50, v85 :: v_dual_sub_f32 v88, v67, v70
	v_add_f32_e32 v56, v58, v65
	v_add_f32_e32 v68, v69, v84
	v_fma_f32 v61, -0.5, v61, v57
	v_dual_add_f32 v57, v65, v66 :: v_dual_add_f32 v90, v62, v71
	v_dual_sub_f32 v75, v65, v66 :: v_dual_sub_f32 v92, v91, v93
	s_wait_loadcnt 0x0
	v_dual_add_f32 v65, v52, v67 :: v_dual_mul_f32 v100, v2, v29
	v_dual_sub_f32 v85, v87, v89 :: v_dual_mul_f32 v102, v72, v31
	v_add_f32_e32 v87, v87, v89
	v_mul_f32_e32 v99, v3, v29
	v_dual_mul_f32 v101, v73, v31 :: v_dual_fmamk_f32 v50, v51, 0x3f5db3d7, v60
	v_dual_add_f32 v69, v67, v70 :: v_dual_sub_f32 v98, v62, v71
	v_dual_add_f32 v67, v54, v62 :: v_dual_add_f32 v94, v55, v91
	v_dual_add_f32 v91, v91, v93 :: v_dual_add_f32 v62, v56, v66
	v_dual_fmac_f32 v60, 0xbf5db3d7, v51 :: v_dual_fmamk_f32 v51, v63, 0xbf5db3d7, v61
	v_dual_fmac_f32 v102, v73, v30 :: v_dual_fmac_f32 v61, 0x3f5db3d7, v63
	v_fmac_f32_e32 v100, v3, v28
	v_fma_f32 v58, -0.5, v57, v58
	v_dual_fmac_f32 v59, -0.5, v68 :: v_dual_add_f32 v68, v65, v70
	v_fma_f32 v65, -0.5, v87, v53
	v_fma_f32 v2, v2, v28, -v99
	s_delay_alu instid0(VALU_DEP_4)
	v_fmamk_f32 v56, v74, 0x3f5db3d7, v58
	v_fma_f32 v3, v72, v30, -v101
	v_dual_add_f32 v63, v64, v84 :: v_dual_add_f32 v66, v67, v71
	v_fma_f32 v64, -0.5, v69, v52
	v_dual_add_f32 v69, v86, v89 :: v_dual_fmac_f32 v58, 0xbf5db3d7, v74
	v_fmac_f32_e32 v55, -0.5, v91
	v_dual_fmamk_f32 v71, v88, 0xbf5db3d7, v65 :: v_dual_add_f32 v72, v2, v3
	v_dual_fmac_f32 v65, 0x3f5db3d7, v88 :: v_dual_add_f32 v74, v100, v102
	v_dual_add_f32 v73, v0, v2 :: v_dual_sub_f32 v2, v2, v3
	v_fma_f32 v54, -0.5, v90, v54
	v_dual_add_f32 v67, v94, v93 :: v_dual_fmamk_f32 v70, v85, 0x3f5db3d7, v64
	v_fmamk_f32 v57, v75, 0xbf5db3d7, v59
	s_delay_alu instid0(VALU_DEP_3) | instskip(SKIP_4) | instid1(VALU_DEP_3)
	v_dual_fmac_f32 v59, 0x3f5db3d7, v75 :: v_dual_fmamk_f32 v52, v92, 0x3f5db3d7, v54
	v_dual_fmac_f32 v64, 0xbf5db3d7, v85 :: v_dual_fmamk_f32 v53, v98, 0xbf5db3d7, v55
	v_dual_add_f32 v84, v1, v100 :: v_dual_fmac_f32 v55, 0x3f5db3d7, v98
	v_dual_fmac_f32 v0, -0.5, v72 :: v_dual_sub_f32 v75, v100, v102
	v_dual_add_f32 v72, v73, v3 :: v_dual_fmac_f32 v1, -0.5, v74
	v_dual_fmac_f32 v54, 0xbf5db3d7, v92 :: v_dual_add_f32 v73, v84, v102
	s_delay_alu instid0(VALU_DEP_3) | instskip(NEXT) | instid1(VALU_DEP_3)
	v_fmamk_f32 v74, v75, 0x3f5db3d7, v0
	v_dual_fmac_f32 v0, 0xbf5db3d7, v75 :: v_dual_fmamk_f32 v75, v2, 0xbf5db3d7, v1
	v_fmac_f32_e32 v1, 0x3f5db3d7, v2
	ds_store_2addr_b64 v95, v[48:49], v[62:63] offset1:51
	ds_store_2addr_b64 v83, v[50:51], v[56:57] offset0:93 offset1:144
	ds_store_2addr_b64 v81, v[60:61], v[58:59] offset0:186 offset1:237
	;; [unrolled: 1-line block ×5, first 2 shown]
	s_and_saveexec_b32 s1, s0
	s_cbranch_execz .LBB0_11
; %bb.10:
	v_add_nc_u32_e32 v2, 0x600, v95
	ds_store_2addr_b64 v2, v[72:73], v[74:75] offset0:12 offset1:233
	ds_store_b64 v95, v[0:1] offset:5168
.LBB0_11:
	s_wait_alu 0xfffe
	s_or_b32 exec_lo, exec_lo, s1
	global_wb scope:SCOPE_SE
	s_wait_dscnt 0x0
	s_barrier_signal -1
	s_barrier_wait -1
	global_inv scope:SCOPE_SE
	s_and_saveexec_b32 s1, vcc_lo
	s_cbranch_execz .LBB0_13
; %bb.12:
	global_load_b64 v[2:3], v95, s[8:9] offset:5304
	s_add_nc_u64 s[2:3], s[8:9], 0x14b8
	s_clause 0xf
	global_load_b64 v[93:94], v95, s[2:3] offset:312
	global_load_b64 v[118:119], v95, s[2:3] offset:624
	;; [unrolled: 1-line block ×16, first 2 shown]
	ds_load_b64 v[81:82], v95
	v_add_nc_u32_e32 v149, 0xc00, v95
	s_wait_loadcnt_dscnt 0x1000
	v_mul_f32_e32 v83, v82, v3
	v_mul_f32_e32 v84, v81, v3
	s_delay_alu instid0(VALU_DEP_2) | instskip(NEXT) | instid1(VALU_DEP_2)
	v_fma_f32 v83, v81, v2, -v83
	v_fmac_f32_e32 v84, v82, v2
	ds_store_b64 v95, v[83:84]
	ds_load_2addr_b64 v[81:84], v95 offset0:39 offset1:78
	ds_load_2addr_b64 v[85:88], v95 offset0:117 offset1:156
	v_add_nc_u32_e32 v148, 0x800, v95
	s_wait_loadcnt_dscnt 0xf01
	v_dual_mul_f32 v3, v81, v94 :: v_dual_add_nc_u32 v150, 0x1000, v95
	ds_load_2addr_b64 v[89:92], v95 offset0:195 offset1:234
	ds_load_2addr_b64 v[98:101], v148 offset0:17 offset1:56
	s_wait_loadcnt 0xe
	v_dual_mul_f32 v2, v82, v94 :: v_dual_mul_f32 v151, v84, v119
	s_wait_loadcnt_dscnt 0xd02
	v_dual_mul_f32 v94, v83, v119 :: v_dual_mul_f32 v119, v85, v121
	ds_load_2addr_b64 v[102:105], v148 offset0:95 offset1:134
	ds_load_2addr_b64 v[106:109], v148 offset0:173 offset1:212
	;; [unrolled: 1-line block ×4, first 2 shown]
	s_wait_loadcnt 0xc
	v_dual_mul_f32 v152, v86, v121 :: v_dual_mul_f32 v153, v88, v123
	v_mul_f32_e32 v121, v87, v123
	v_fma_f32 v2, v81, v93, -v2
	v_fmac_f32_e32 v3, v82, v93
	v_fma_f32 v93, v83, v118, -v151
	v_fmac_f32_e32 v119, v86, v120
	s_wait_loadcnt_dscnt 0xb05
	v_mul_f32_e32 v154, v90, v125
	v_mul_f32_e32 v123, v89, v125
	s_wait_loadcnt_dscnt 0x703
	v_dual_mul_f32 v155, v92, v127 :: v_dual_mul_f32 v158, v103, v133
	v_dual_mul_f32 v125, v91, v127 :: v_dual_fmac_f32 v94, v84, v118
	v_mul_f32_e32 v156, v99, v129
	v_mul_f32_e32 v127, v98, v129
	s_wait_loadcnt_dscnt 0x502
	v_dual_mul_f32 v157, v101, v131 :: v_dual_mul_f32 v160, v107, v137
	s_wait_loadcnt_dscnt 0x301
	v_dual_mul_f32 v129, v100, v131 :: v_dual_mul_f32 v162, v111, v141
	v_mul_f32_e32 v131, v102, v133
	s_wait_loadcnt_dscnt 0x100
	v_dual_mul_f32 v159, v105, v135 :: v_dual_mul_f32 v164, v115, v145
	v_mul_f32_e32 v133, v104, v135
	v_mul_f32_e32 v135, v106, v137
	;; [unrolled: 1-line block ×8, first 2 shown]
	s_wait_loadcnt 0x0
	v_mul_f32_e32 v165, v117, v147
	v_mul_f32_e32 v145, v116, v147
	v_fma_f32 v118, v85, v120, -v152
	v_fma_f32 v120, v87, v122, -v153
	v_fmac_f32_e32 v121, v88, v122
	v_fma_f32 v122, v89, v124, -v154
	v_fmac_f32_e32 v123, v90, v124
	;; [unrolled: 2-line block ×13, first 2 shown]
	ds_store_2addr_b64 v95, v[2:3], v[93:94] offset0:39 offset1:78
	ds_store_2addr_b64 v95, v[118:119], v[120:121] offset0:117 offset1:156
	;; [unrolled: 1-line block ×8, first 2 shown]
.LBB0_13:
	s_wait_alu 0xfffe
	s_or_b32 exec_lo, exec_lo, s1
	global_wb scope:SCOPE_SE
	s_wait_dscnt 0x0
	s_barrier_signal -1
	s_barrier_wait -1
	global_inv scope:SCOPE_SE
	s_and_saveexec_b32 s1, vcc_lo
	s_cbranch_execz .LBB0_15
; %bb.14:
	v_add_nc_u32_e32 v0, 0x1000, v95
	v_add_nc_u32_e32 v52, 0x400, v95
	ds_load_2addr_b64 v[48:51], v95 offset1:39
	ds_load_2addr_b64 v[60:63], v95 offset0:78 offset1:117
	v_add_nc_u32_e32 v72, 0x800, v95
	ds_load_2addr_b64 v[0:3], v0 offset0:34 offset1:73
	ds_load_2addr_b64 v[56:59], v95 offset0:156 offset1:195
	ds_load_b64 v[77:78], v95 offset:4992
	ds_load_2addr_b64 v[68:71], v52 offset0:106 offset1:145
	ds_load_2addr_b64 v[64:67], v72 offset0:56 offset1:95
	;; [unrolled: 1-line block ×4, first 2 shown]
	s_wait_dscnt 0x6
	v_dual_mov_b32 v79, v2 :: v_dual_mov_b32 v80, v3
.LBB0_15:
	s_wait_alu 0xfffe
	s_or_b32 exec_lo, exec_lo, s1
	s_wait_dscnt 0x4
	v_dual_sub_f32 v115, v51, v78 :: v_dual_sub_f32 v100, v50, v77
	v_dual_add_f32 v119, v78, v51 :: v_dual_add_f32 v98, v77, v50
	v_dual_add_f32 v102, v0, v62 :: v_dual_sub_f32 v103, v62, v0
	s_delay_alu instid0(VALU_DEP_3) | instskip(NEXT) | instid1(VALU_DEP_3)
	v_dual_mul_f32 v91, 0xbf65296c, v115 :: v_dual_add_f32 v120, v80, v61
	v_dual_mul_f32 v92, 0x3ee437d1, v119 :: v_dual_add_f32 v99, v79, v60
	v_sub_f32_e32 v114, v61, v80
	s_delay_alu instid0(VALU_DEP_3) | instskip(SKIP_1) | instid1(VALU_DEP_4)
	v_fma_f32 v2, 0x3ee437d1, v98, -v91
	v_mul_f32_e32 v198, 0xbf7ee86f, v115
	v_fmamk_f32 v3, v100, 0xbf65296c, v92
	v_mul_f32_e32 v89, 0x3dbcf732, v119
	v_dual_mul_f32 v93, 0xbf4c4adb, v114 :: v_dual_sub_f32 v116, v63, v1
	v_add_f32_e32 v2, v48, v2
	v_dual_sub_f32 v101, v60, v79 :: v_dual_mul_f32 v182, 0xbf1a4643, v120
	s_delay_alu instid0(VALU_DEP_3) | instskip(SKIP_3) | instid1(VALU_DEP_4)
	v_fma_f32 v83, 0xbf1a4643, v99, -v93
	v_dual_add_f32 v3, v49, v3 :: v_dual_fmamk_f32 v82, v100, 0xbf7ee86f, v89
	v_fma_f32 v81, 0x3dbcf732, v98, -v198
	v_dual_mul_f32 v90, 0xbf7ba420, v120 :: v_dual_add_f32 v123, v1, v63
	v_dual_add_f32 v2, v83, v2 :: v_dual_fmamk_f32 v83, v101, 0xbf4c4adb, v182
	s_delay_alu instid0(VALU_DEP_2) | instskip(NEXT) | instid1(VALU_DEP_4)
	v_dual_mul_f32 v201, 0xbe3c28d5, v114 :: v_dual_fmamk_f32 v84, v101, 0xbe3c28d5, v90
	v_dual_add_f32 v81, v48, v81 :: v_dual_add_f32 v82, v49, v82
	s_delay_alu instid0(VALU_DEP_3) | instskip(NEXT) | instid1(VALU_DEP_3)
	v_add_f32_e32 v3, v83, v3
	v_fma_f32 v83, 0xbf7ba420, v99, -v201
	v_mul_f32_e32 v94, 0x3e3c28d5, v116
	s_delay_alu instid0(VALU_DEP_4)
	v_dual_mul_f32 v197, 0xbf7ba420, v123 :: v_dual_add_f32 v82, v84, v82
	s_wait_dscnt 0x0
	v_dual_sub_f32 v117, v57, v75 :: v_dual_mul_f32 v206, 0x3f763a35, v116
	v_add_f32_e32 v81, v83, v81
	v_fma_f32 v85, 0xbf7ba420, v102, -v94
	v_fmamk_f32 v83, v103, 0x3e3c28d5, v197
	v_dual_mul_f32 v212, 0xbe8c1d8e, v123 :: v_dual_add_f32 v125, v75, v57
	v_add_f32_e32 v104, v74, v56
	s_delay_alu instid0(VALU_DEP_4) | instskip(SKIP_4) | instid1(VALU_DEP_4)
	v_add_f32_e32 v2, v85, v2
	v_dual_mul_f32 v176, 0x3f763a35, v117 :: v_dual_sub_f32 v105, v56, v74
	v_add_f32_e32 v3, v83, v3
	v_fma_f32 v83, 0xbe8c1d8e, v102, -v206
	v_mul_f32_e32 v200, 0xbe8c1d8e, v125
	v_fma_f32 v85, 0xbe8c1d8e, v104, -v176
	v_dual_add_f32 v128, v73, v59 :: v_dual_add_f32 v131, v55, v69
	v_dual_fmamk_f32 v84, v103, 0x3f763a35, v212 :: v_dual_sub_f32 v107, v58, v72
	s_delay_alu instid0(VALU_DEP_3) | instskip(NEXT) | instid1(VALU_DEP_3)
	v_dual_add_f32 v81, v83, v81 :: v_dual_add_f32 v2, v85, v2
	v_dual_mul_f32 v203, 0x3f3d2fb0, v128 :: v_dual_sub_f32 v118, v59, v73
	v_fmamk_f32 v83, v105, 0x3f763a35, v200
	v_dual_mul_f32 v214, 0x3f6eb680, v125 :: v_dual_sub_f32 v121, v69, v55
	v_mul_f32_e32 v208, 0x3eb8f4ab, v117
	v_add_f32_e32 v82, v84, v82
	s_delay_alu instid0(VALU_DEP_3)
	v_dual_add_f32 v106, v72, v58 :: v_dual_fmamk_f32 v85, v105, 0x3eb8f4ab, v214
	v_add_f32_e32 v3, v83, v3
	v_fmamk_f32 v83, v107, 0x3f2c7751, v203
	v_fma_f32 v84, 0x3f6eb680, v104, -v208
	v_mul_f32_e32 v194, 0x3f2c7751, v118
	v_mul_f32_e32 v210, 0xbf65296c, v118
	v_dual_mul_f32 v216, 0x3ee437d1, v128 :: v_dual_sub_f32 v109, v68, v54
	s_delay_alu instid0(VALU_DEP_4) | instskip(NEXT) | instid1(VALU_DEP_4)
	v_add_f32_e32 v81, v84, v81
	v_fma_f32 v86, 0x3f3d2fb0, v106, -v194
	v_add_f32_e32 v3, v83, v3
	v_fma_f32 v84, 0x3ee437d1, v106, -v210
	v_dual_add_f32 v82, v85, v82 :: v_dual_mul_f32 v199, 0xbeb8f4ab, v121
	s_delay_alu instid0(VALU_DEP_4) | instskip(NEXT) | instid1(VALU_DEP_3)
	v_dual_add_f32 v2, v86, v2 :: v_dual_fmamk_f32 v85, v107, 0xbf65296c, v216
	v_dual_mul_f32 v204, 0x3f6eb680, v131 :: v_dual_add_f32 v81, v84, v81
	v_dual_add_f32 v108, v54, v68 :: v_dual_mul_f32 v211, 0xbf06c442, v121
	s_delay_alu instid0(VALU_DEP_3) | instskip(NEXT) | instid1(VALU_DEP_3)
	v_add_f32_e32 v82, v85, v82
	v_dual_fmamk_f32 v83, v109, 0xbeb8f4ab, v204 :: v_dual_sub_f32 v122, v71, v53
	v_mul_f32_e32 v217, 0xbf59a7d5, v131
	s_delay_alu instid0(VALU_DEP_4) | instskip(SKIP_1) | instid1(VALU_DEP_4)
	v_fma_f32 v86, 0x3f6eb680, v108, -v199
	v_dual_add_f32 v126, v53, v71 :: v_dual_sub_f32 v111, v70, v52
	v_add_f32_e32 v3, v83, v3
	v_fma_f32 v83, 0xbf59a7d5, v108, -v211
	s_delay_alu instid0(VALU_DEP_4) | instskip(SKIP_2) | instid1(VALU_DEP_4)
	v_add_f32_e32 v2, v86, v2
	v_add_f32_e32 v110, v52, v70
	v_dual_mul_f32 v207, 0x3dbcf732, v126 :: v_dual_sub_f32 v124, v65, v67
	v_dual_mul_f32 v202, 0xbf7ee86f, v122 :: v_dual_add_f32 v81, v83, v81
	v_dual_mul_f32 v213, 0x3f4c4adb, v122 :: v_dual_add_f32 v112, v66, v64
	s_delay_alu instid0(VALU_DEP_3) | instskip(NEXT) | instid1(VALU_DEP_3)
	v_fmamk_f32 v83, v111, 0xbf7ee86f, v207
	v_fma_f32 v85, 0x3dbcf732, v110, -v202
	v_dual_add_f32 v127, v67, v65 :: v_dual_fmamk_f32 v84, v109, 0xbf06c442, v217
	s_delay_alu instid0(VALU_DEP_4) | instskip(NEXT) | instid1(VALU_DEP_3)
	v_fma_f32 v86, 0xbf1a4643, v110, -v213
	v_dual_add_f32 v3, v83, v3 :: v_dual_add_f32 v2, v85, v2
	v_mul_f32_e32 v219, 0xbf1a4643, v126
	s_delay_alu instid0(VALU_DEP_4) | instskip(SKIP_3) | instid1(VALU_DEP_4)
	v_dual_sub_f32 v113, v64, v66 :: v_dual_mul_f32 v218, 0x3f3d2fb0, v127
	v_dual_mul_f32 v215, 0x3f2c7751, v124 :: v_dual_add_f32 v82, v84, v82
	v_add_f32_e32 v83, v86, v81
	v_mul_f32_e32 v209, 0xbf59a7d5, v127
	v_fmamk_f32 v86, v113, 0x3f2c7751, v218
	s_delay_alu instid0(VALU_DEP_4)
	v_fma_f32 v85, 0x3f3d2fb0, v112, -v215
	v_fmamk_f32 v81, v111, 0x3f4c4adb, v219
	v_mul_f32_e32 v205, 0xbf06c442, v124
	global_wb scope:SCOPE_SE
	s_barrier_signal -1
	s_barrier_wait -1
	v_add_f32_e32 v84, v81, v82
	v_fma_f32 v81, 0xbf59a7d5, v112, -v205
	v_fmamk_f32 v82, v113, 0xbf06c442, v209
	global_inv scope:SCOPE_SE
	v_dual_add_f32 v81, v81, v2 :: v_dual_add_f32 v82, v82, v3
	v_dual_add_f32 v3, v86, v84 :: v_dual_add_f32 v2, v85, v83
	s_and_saveexec_b32 s1, vcc_lo
	s_cbranch_execz .LBB0_17
; %bb.16:
	v_mul_f32_e32 v158, 0xbe3c28d5, v121
	v_dual_mul_f32 v177, 0xbe3c28d5, v101 :: v_dual_mul_f32 v140, 0xbe3c28d5, v115
	v_mul_f32_e32 v138, 0xbf7ba420, v119
	v_mul_f32_e32 v143, 0x3eb8f4ab, v114
	s_delay_alu instid0(VALU_DEP_4) | instskip(SKIP_2) | instid1(VALU_DEP_4)
	v_dual_fmamk_f32 v142, v108, 0xbf7ba420, v158 :: v_dual_mul_f32 v169, 0xbf7ba420, v126
	v_mul_f32_e32 v157, 0xbeb8f4ab, v118
	v_mul_f32_e32 v147, 0x3f6eb680, v128
	v_dual_mul_f32 v139, 0x3f6eb680, v120 :: v_dual_fmamk_f32 v86, v99, 0x3f6eb680, v143
	v_fmamk_f32 v85, v98, 0xbf7ba420, v140
	s_delay_alu instid0(VALU_DEP_4) | instskip(SKIP_2) | instid1(VALU_DEP_4)
	v_fmamk_f32 v134, v106, 0x3f6eb680, v157
	v_mul_f32_e32 v163, 0xbf06c442, v115
	v_dual_mul_f32 v137, 0x3f65296c, v121 :: v_dual_mul_f32 v164, 0x3f65296c, v114
	v_dual_fmamk_f32 v84, v101, 0xbeb8f4ab, v139 :: v_dual_add_f32 v85, v48, v85
	s_delay_alu instid0(VALU_DEP_3) | instskip(SKIP_1) | instid1(VALU_DEP_4)
	v_fmamk_f32 v88, v98, 0xbf59a7d5, v163
	v_mul_f32_e32 v129, 0xbf763a35, v122
	v_dual_mul_f32 v133, 0x3ee437d1, v120 :: v_dual_fmamk_f32 v130, v99, 0x3ee437d1, v164
	s_delay_alu instid0(VALU_DEP_4) | instskip(NEXT) | instid1(VALU_DEP_4)
	v_dual_mul_f32 v150, 0xbf06c442, v116 :: v_dual_add_f32 v85, v86, v85
	v_add_f32_e32 v88, v48, v88
	v_fmamk_f32 v83, v100, 0x3e3c28d5, v138
	s_delay_alu instid0(VALU_DEP_3) | instskip(SKIP_1) | instid1(VALU_DEP_4)
	v_dual_mul_f32 v141, 0xbf59a7d5, v123 :: v_dual_fmamk_f32 v86, v102, 0xbf59a7d5, v150
	v_dual_mul_f32 v151, 0xbf1a4643, v128 :: v_dual_mul_f32 v146, 0xbf1a4643, v125
	v_add_f32_e32 v88, v130, v88
	s_delay_alu instid0(VALU_DEP_4) | instskip(NEXT) | instid1(VALU_DEP_4)
	v_dual_mul_f32 v220, 0x3ee437d1, v98 :: v_dual_add_f32 v83, v49, v83
	v_dual_mul_f32 v222, 0x3dbcf732, v98 :: v_dual_add_f32 v85, v86, v85
	v_mul_f32_e32 v153, 0x3ee437d1, v131
	v_mul_f32_e32 v135, 0xbe8c1d8e, v126
	s_delay_alu instid0(VALU_DEP_4) | instskip(SKIP_3) | instid1(VALU_DEP_4)
	v_dual_add_f32 v83, v84, v83 :: v_dual_fmamk_f32 v84, v103, 0x3f06c442, v141
	v_mul_f32_e32 v224, 0xbf4c4adb, v101
	v_mul_f32_e32 v165, 0xbf7ee86f, v116
	;; [unrolled: 1-line block ×3, first 2 shown]
	v_dual_mul_f32 v156, 0x3f4c4adb, v117 :: v_dual_add_f32 v83, v84, v83
	v_mul_f32_e32 v152, 0x3f2c7751, v117
	v_mul_f32_e32 v145, 0x3f3d2fb0, v125
	v_fmamk_f32 v130, v102, 0x3dbcf732, v165
	v_mul_f32_e32 v227, 0x3f763a35, v103
	v_mul_f32_e32 v170, 0xbf4c4adb, v115
	v_fmamk_f32 v86, v104, 0x3f3d2fb0, v152
	v_fmamk_f32 v84, v105, 0xbf2c7751, v145
	v_add_f32_e32 v88, v130, v88
	v_fmamk_f32 v130, v104, 0xbf1a4643, v156
	s_delay_alu instid0(VALU_DEP_4) | instskip(NEXT) | instid1(VALU_DEP_4)
	v_dual_mul_f32 v172, 0x3f763a35, v114 :: v_dual_add_f32 v85, v86, v85
	v_dual_add_f32 v83, v84, v83 :: v_dual_mul_f32 v154, 0xbf4c4adb, v118
	v_mul_f32_e32 v223, 0xbf1a4643, v99
	v_mul_f32_e32 v167, 0x3f7ee86f, v118
	;; [unrolled: 1-line block ×4, first 2 shown]
	v_fmamk_f32 v86, v106, 0xbf1a4643, v154
	v_fmamk_f32 v84, v107, 0x3f4c4adb, v151
	;; [unrolled: 1-line block ×4, first 2 shown]
	s_delay_alu instid0(VALU_DEP_4) | instskip(NEXT) | instid1(VALU_DEP_4)
	v_dual_mul_f32 v132, 0x3f7ee86f, v124 :: v_dual_add_f32 v85, v86, v85
	v_add_f32_e32 v83, v84, v83
	v_fmamk_f32 v86, v108, 0x3ee437d1, v137
	v_dual_mul_f32 v221, 0xbf65296c, v100 :: v_dual_fmamk_f32 v84, v109, 0xbf65296c, v153
	s_delay_alu instid0(VALU_DEP_4) | instskip(NEXT) | instid1(VALU_DEP_3)
	v_dual_mul_f32 v136, 0x3dbcf732, v127 :: v_dual_fmamk_f32 v87, v112, 0x3dbcf732, v132
	v_add_f32_e32 v85, v86, v85
	s_delay_alu instid0(VALU_DEP_3) | instskip(SKIP_2) | instid1(VALU_DEP_3)
	v_dual_fmamk_f32 v86, v110, 0xbe8c1d8e, v129 :: v_dual_add_f32 v83, v84, v83
	v_fmamk_f32 v84, v111, 0x3f763a35, v135
	v_mul_f32_e32 v171, 0xbf7ee86f, v100
	v_dual_mul_f32 v160, 0xbf59a7d5, v119 :: v_dual_add_f32 v85, v86, v85
	s_delay_alu instid0(VALU_DEP_3) | instskip(SKIP_4) | instid1(VALU_DEP_4)
	v_dual_fmamk_f32 v86, v101, 0xbf65296c, v133 :: v_dual_add_f32 v83, v84, v83
	v_fmamk_f32 v84, v113, 0xbf7ee86f, v136
	v_add_f32_e32 v88, v130, v88
	v_mul_f32_e32 v188, 0xbf7ba420, v128
	v_dual_mul_f32 v130, 0xbe8c1d8e, v127 :: v_dual_mul_f32 v175, 0xbe8c1d8e, v120
	v_add_f32_e32 v84, v84, v83
	s_delay_alu instid0(VALU_DEP_4) | instskip(SKIP_2) | instid1(VALU_DEP_3)
	v_dual_fmamk_f32 v83, v100, 0x3f06c442, v160 :: v_dual_add_f32 v88, v134, v88
	v_mul_f32_e32 v134, 0x3f2c7751, v122
	v_mul_f32_e32 v149, 0x3f3d2fb0, v126
	v_dual_fmamk_f32 v228, v107, 0x3e3c28d5, v188 :: v_dual_add_f32 v83, v49, v83
	s_delay_alu instid0(VALU_DEP_4) | instskip(NEXT) | instid1(VALU_DEP_4)
	v_add_f32_e32 v88, v142, v88
	v_fmamk_f32 v142, v110, 0x3f3d2fb0, v134
	v_mul_f32_e32 v148, 0xbf7ba420, v131
	v_mul_f32_e32 v186, 0x3f3d2fb0, v123
	v_dual_add_f32 v83, v86, v83 :: v_dual_fmamk_f32 v86, v103, 0x3f7ee86f, v161
	v_dual_mul_f32 v225, 0xbf7ba420, v99 :: v_dual_mul_f32 v226, 0xbf7ba420, v102
	v_sub_f32_e32 v92, v92, v221
	v_sub_f32_e32 v182, v182, v224
	s_delay_alu instid0(VALU_DEP_4) | instskip(NEXT) | instid1(VALU_DEP_4)
	v_dual_add_f32 v83, v86, v83 :: v_dual_fmamk_f32 v86, v105, 0xbf4c4adb, v146
	v_add_f32_e32 v94, v226, v94
	s_delay_alu instid0(VALU_DEP_4) | instskip(SKIP_1) | instid1(VALU_DEP_4)
	v_add_f32_e32 v92, v49, v92
	v_add_f32_e32 v50, v50, v48
	v_dual_fmac_f32 v160, 0xbf06c442, v100 :: v_dual_add_f32 v83, v86, v83
	v_fmamk_f32 v86, v107, 0x3eb8f4ab, v147
	s_delay_alu instid0(VALU_DEP_4) | instskip(NEXT) | instid1(VALU_DEP_4)
	v_add_f32_e32 v92, v182, v92
	v_dual_add_f32 v50, v60, v50 :: v_dual_mul_f32 v187, 0x3ee437d1, v125
	v_mul_f32_e32 v191, 0x3f06c442, v114
	s_delay_alu instid0(VALU_DEP_4) | instskip(NEXT) | instid1(VALU_DEP_3)
	v_dual_add_f32 v83, v86, v83 :: v_dual_fmamk_f32 v86, v109, 0x3e3c28d5, v148
	v_add_f32_e32 v50, v62, v50
	v_mul_f32_e32 v62, 0xbf7ee86f, v117
	s_delay_alu instid0(VALU_DEP_4) | instskip(SKIP_4) | instid1(VALU_DEP_3)
	v_fmamk_f32 v195, v99, 0xbf59a7d5, v191
	v_mul_f32_e32 v193, 0x3f2c7751, v116
	v_dual_add_f32 v83, v86, v83 :: v_dual_fmamk_f32 v86, v111, 0xbf2c7751, v149
	v_dual_add_f32 v50, v56, v50 :: v_dual_mul_f32 v185, 0xbe8c1d8e, v119
	v_dual_sub_f32 v90, v90, v177 :: v_dual_sub_f32 v89, v89, v171
	v_dual_add_f32 v86, v86, v83 :: v_dual_add_f32 v83, v87, v85
	v_add_f32_e32 v87, v142, v88
	v_fmamk_f32 v142, v98, 0xbf1a4643, v170
	v_mul_f32_e32 v189, 0x3f6eb680, v123
	v_fmamk_f32 v88, v101, 0xbf763a35, v175
	v_dual_fmamk_f32 v196, v102, 0x3f3d2fb0, v193 :: v_dual_add_f32 v89, v49, v89
	s_delay_alu instid0(VALU_DEP_4) | instskip(SKIP_1) | instid1(VALU_DEP_3)
	v_dual_add_f32 v142, v48, v142 :: v_dual_mul_f32 v173, 0xbeb8f4ab, v116
	v_add_f32_e32 v50, v58, v50
	v_dual_fmamk_f32 v58, v104, 0x3dbcf732, v62 :: v_dual_add_f32 v89, v90, v89
	s_delay_alu instid0(VALU_DEP_3) | instskip(SKIP_3) | instid1(VALU_DEP_4)
	v_dual_add_f32 v142, v155, v142 :: v_dual_fmamk_f32 v155, v102, 0x3f6eb680, v173
	v_dual_mul_f32 v179, 0x3dbcf732, v128 :: v_dual_sub_f32 v90, v212, v227
	v_mul_f32_e32 v212, 0x3eb8f4ab, v105
	v_add_f32_e32 v198, v222, v198
	v_dual_add_f32 v142, v155, v142 :: v_dual_fmamk_f32 v155, v104, 0xbf59a7d5, v166
	v_mul_f32_e32 v174, 0xbf1a4643, v119
	s_delay_alu instid0(VALU_DEP_4)
	v_sub_f32_e32 v212, v214, v212
	v_mul_f32_e32 v214, 0xbe8c1d8e, v102
	v_dual_mul_f32 v222, 0x3f6eb680, v104 :: v_dual_add_f32 v91, v220, v91
	v_add_f32_e32 v159, v155, v142
	v_mul_f32_e32 v155, 0xbf2c7751, v121
	v_mul_f32_e32 v142, 0x3ee437d1, v127
	;; [unrolled: 1-line block ×3, first 2 shown]
	v_fmac_f32_e32 v136, 0x3f7ee86f, v113
	v_add_f32_e32 v168, v168, v159
	v_fmamk_f32 v181, v108, 0x3f3d2fb0, v155
	v_mul_f32_e32 v159, 0xbe3c28d5, v122
	v_fmamk_f32 v183, v113, 0xbf65296c, v142
	v_fmamk_f32 v85, v100, 0x3f4c4adb, v174
	v_fmac_f32_e32 v174, 0xbf4c4adb, v100
	s_delay_alu instid0(VALU_DEP_4) | instskip(NEXT) | instid1(VALU_DEP_3)
	v_dual_add_f32 v181, v181, v168 :: v_dual_fmamk_f32 v184, v110, 0xbf7ba420, v159
	v_dual_mul_f32 v168, 0xbf59a7d5, v120 :: v_dual_add_f32 v85, v49, v85
	v_mul_f32_e32 v232, 0x3e3c28d5, v103
	v_add_f32_e32 v198, v48, v198
	s_delay_alu instid0(VALU_DEP_3) | instskip(NEXT) | instid1(VALU_DEP_4)
	v_dual_add_f32 v184, v184, v181 :: v_dual_fmamk_f32 v181, v101, 0xbf06c442, v168
	v_dual_add_f32 v85, v88, v85 :: v_dual_fmamk_f32 v88, v103, 0x3eb8f4ab, v189
	v_fmac_f32_e32 v168, 0x3f06c442, v101
	v_dual_fmac_f32 v146, 0x3f4c4adb, v105 :: v_dual_add_f32 v91, v48, v91
	v_mul_f32_e32 v221, 0xbf7ee86f, v111
	s_delay_alu instid0(VALU_DEP_4) | instskip(SKIP_3) | instid1(VALU_DEP_4)
	v_dual_add_f32 v85, v88, v85 :: v_dual_fmamk_f32 v88, v105, 0x3f06c442, v178
	v_add_f32_e32 v201, v225, v201
	v_sub_f32_e32 v197, v197, v232
	v_dual_add_f32 v93, v223, v93 :: v_dual_add_f32 v208, v222, v208
	v_dual_add_f32 v85, v88, v85 :: v_dual_fmamk_f32 v88, v107, 0xbf7ee86f, v179
	v_fmamk_f32 v144, v113, 0x3f763a35, v130
	v_dual_add_f32 v198, v201, v198 :: v_dual_mul_f32 v201, 0x3f4c4adb, v111
	v_add_f32_e32 v197, v197, v92
	s_delay_alu instid0(VALU_DEP_4) | instskip(NEXT) | instid1(VALU_DEP_4)
	v_add_f32_e32 v85, v88, v85
	v_add_f32_e32 v86, v144, v86
	v_fmamk_f32 v88, v109, 0x3f2c7751, v180
	v_dual_mul_f32 v144, 0xbf763a35, v124 :: v_dual_sub_f32 v201, v219, v201
	v_mul_f32_e32 v219, 0xbf59a7d5, v108
	v_fmac_f32_e32 v179, 0x3f7ee86f, v107
	s_delay_alu instid0(VALU_DEP_4) | instskip(NEXT) | instid1(VALU_DEP_4)
	v_add_f32_e32 v85, v88, v85
	v_fmamk_f32 v162, v112, 0xbe8c1d8e, v144
	v_dual_fmamk_f32 v88, v111, 0x3e3c28d5, v169 :: v_dual_add_f32 v93, v93, v91
	v_dual_mul_f32 v222, 0xbf1a4643, v110 :: v_dual_add_f32 v51, v51, v49
	v_fmac_f32_e32 v139, 0x3eb8f4ab, v101
	s_delay_alu instid0(VALU_DEP_3) | instskip(NEXT) | instid1(VALU_DEP_4)
	v_add_f32_e32 v88, v88, v85
	v_add_f32_e32 v93, v94, v93
	;; [unrolled: 1-line block ×3, first 2 shown]
	v_fmamk_f32 v87, v100, 0x3f763a35, v185
	v_dual_mul_f32 v162, 0x3f65296c, v124 :: v_dual_add_f32 v51, v61, v51
	v_fmac_f32_e32 v141, 0xbf06c442, v103
	v_fmac_f32_e32 v145, 0x3f2c7751, v105
	s_delay_alu instid0(VALU_DEP_4)
	v_add_f32_e32 v87, v49, v87
	v_fmac_f32_e32 v153, 0x3f65296c, v109
	v_add_f32_e32 v51, v63, v51
	v_mul_f32_e32 v63, 0xbf65296c, v116
	v_fmac_f32_e32 v151, 0xbf4c4adb, v107
	v_add_f32_e32 v87, v181, v87
	v_fmamk_f32 v181, v103, 0xbf2c7751, v186
	v_add_f32_e32 v51, v57, v51
	v_fmac_f32_e32 v133, 0x3f65296c, v101
	v_fmac_f32_e32 v161, 0xbf7ee86f, v103
	;; [unrolled: 1-line block ×3, first 2 shown]
	v_add_f32_e32 v87, v181, v87
	v_fmamk_f32 v181, v105, 0x3f65296c, v187
	v_fmamk_f32 v192, v112, 0x3ee437d1, v162
	v_mul_f32_e32 v190, 0xbf763a35, v115
	v_add_f32_e32 v51, v59, v51
	v_fmac_f32_e32 v189, 0xbeb8f4ab, v103
	v_add_f32_e32 v87, v181, v87
	v_fmac_f32_e32 v147, 0xbeb8f4ab, v107
	v_fmac_f32_e32 v175, 0x3f763a35, v101
	v_add_f32_e32 v51, v69, v51
	v_fmac_f32_e32 v169, 0xbe3c28d5, v111
	v_add_f32_e32 v228, v228, v87
	v_dual_add_f32 v87, v192, v184 :: v_dual_mul_f32 v184, 0x3f7ee86f, v121
	v_mul_f32_e32 v181, 0x3dbcf732, v131
	v_add_f32_e32 v51, v71, v51
	v_fma_f32 v69, 0xbf7ba420, v110, -v159
	v_fmac_f32_e32 v185, 0xbf763a35, v100
	v_fmac_f32_e32 v187, 0xbf65296c, v105
	v_fmamk_f32 v230, v109, 0xbf7ee86f, v181
	v_add_f32_e32 v51, v65, v51
	s_delay_alu instid0(VALU_DEP_2) | instskip(SKIP_1) | instid1(VALU_DEP_3)
	v_dual_fmac_f32 v149, 0x3f2c7751, v111 :: v_dual_add_f32 v228, v230, v228
	v_dual_add_f32 v88, v183, v88 :: v_dual_fmamk_f32 v183, v98, 0xbe8c1d8e, v190
	v_add_f32_e32 v65, v67, v51
	v_fma_f32 v67, 0xbf59a7d5, v99, -v191
	s_delay_alu instid0(VALU_DEP_3) | instskip(NEXT) | instid1(VALU_DEP_3)
	v_add_f32_e32 v183, v48, v183
	v_dual_add_f32 v53, v53, v65 :: v_dual_add_f32 v50, v68, v50
	v_mul_f32_e32 v68, 0xbf4c4adb, v121
	v_mul_f32_e32 v65, 0xbe3c28d5, v124
	s_delay_alu instid0(VALU_DEP_4) | instskip(NEXT) | instid1(VALU_DEP_4)
	v_add_f32_e32 v183, v195, v183
	v_dual_mul_f32 v195, 0xbf65296c, v117 :: v_dual_add_f32 v50, v70, v50
	s_delay_alu instid0(VALU_DEP_2) | instskip(NEXT) | instid1(VALU_DEP_2)
	v_dual_add_f32 v53, v55, v53 :: v_dual_add_f32 v196, v196, v183
	v_fmamk_f32 v229, v104, 0x3ee437d1, v195
	s_delay_alu instid0(VALU_DEP_3) | instskip(NEXT) | instid1(VALU_DEP_3)
	v_add_f32_e32 v50, v64, v50
	v_dual_mul_f32 v64, 0xbf06c442, v122 :: v_dual_add_f32 v53, v73, v53
	s_delay_alu instid0(VALU_DEP_3) | instskip(SKIP_1) | instid1(VALU_DEP_3)
	v_add_f32_e32 v192, v229, v196
	v_mul_f32_e32 v196, 0x3f6eb680, v126
	v_dual_add_f32 v50, v66, v50 :: v_dual_add_f32 v53, v75, v53
	v_fma_f32 v66, 0xbe8c1d8e, v99, -v172
	s_delay_alu instid0(VALU_DEP_3) | instskip(NEXT) | instid1(VALU_DEP_3)
	v_fmamk_f32 v231, v111, 0x3eb8f4ab, v196
	v_add_f32_e32 v1, v1, v53
	s_delay_alu instid0(VALU_DEP_2)
	v_add_f32_e32 v227, v231, v228
	v_add_f32_e32 v231, v90, v89
	v_mul_f32_e32 v177, 0xbf4c4adb, v124
	v_fmamk_f32 v230, v108, 0x3dbcf732, v184
	v_add_f32_e32 v1, v80, v1
	v_add_f32_e32 v50, v52, v50
	;; [unrolled: 1-line block ×3, first 2 shown]
	v_mul_f32_e32 v171, 0xbf1a4643, v127
	v_fmac_f32_e32 v181, 0x3f7ee86f, v109
	v_add_f32_e32 v1, v78, v1
	v_add_f32_e32 v54, v54, v50
	v_fmac_f32_e32 v130, 0xbf763a35, v113
	v_fmamk_f32 v228, v113, 0x3f4c4adb, v171
	v_mul_f32_e32 v183, 0xbe3c28d5, v118
	v_fma_f32 v70, 0xbf1a4643, v112, -v177
	v_add_f32_e32 v54, v72, v54
	v_fmac_f32_e32 v138, 0xbe3c28d5, v100
	s_delay_alu instid0(VALU_DEP_4) | instskip(SKIP_3) | instid1(VALU_DEP_4)
	v_dual_add_f32 v90, v228, v227 :: v_dual_fmamk_f32 v229, v106, 0xbf7ba420, v183
	v_mul_f32_e32 v228, 0xbf65296c, v107
	v_dual_mul_f32 v227, 0xbe8c1d8e, v104 :: v_dual_add_f32 v206, v214, v206
	v_mul_f32_e32 v214, 0x3f6eb680, v108
	v_dual_add_f32 v229, v229, v192 :: v_dual_mul_f32 v192, 0xbeb8f4ab, v122
	s_delay_alu instid0(VALU_DEP_4) | instskip(SKIP_2) | instid1(VALU_DEP_4)
	v_sub_f32_e32 v216, v216, v228
	v_mul_f32_e32 v228, 0xbf06c442, v109
	v_mul_f32_e32 v225, 0x3f3d2fb0, v106
	v_add_f32_e32 v229, v230, v229
	v_fmamk_f32 v230, v110, 0x3f6eb680, v192
	v_add_f32_e32 v212, v216, v212
	v_sub_f32_e32 v217, v217, v228
	v_add_f32_e32 v94, v227, v176
	s_delay_alu instid0(VALU_DEP_4) | instskip(SKIP_1) | instid1(VALU_DEP_4)
	v_dual_mul_f32 v228, 0x3ee437d1, v106 :: v_dual_add_f32 v229, v230, v229
	v_fmamk_f32 v230, v112, 0xbf1a4643, v177
	v_add_f32_e32 v212, v217, v212
	v_mul_f32_e32 v216, 0x3f2c7751, v107
	v_mul_f32_e32 v217, 0xbeb8f4ab, v109
	v_dual_mul_f32 v224, 0xbf59a7d5, v112 :: v_dual_add_f32 v93, v94, v93
	v_add_f32_e32 v89, v230, v229
	v_mul_f32_e32 v229, 0x3f763a35, v105
	v_dual_add_f32 v201, v201, v212 :: v_dual_add_f32 v198, v206, v198
	v_mul_f32_e32 v206, 0x3dbcf732, v110
	v_mul_f32_e32 v182, 0x3f2c7751, v113
	s_delay_alu instid0(VALU_DEP_4) | instskip(SKIP_2) | instid1(VALU_DEP_4)
	v_sub_f32_e32 v200, v200, v229
	v_add_f32_e32 v94, v225, v194
	v_add_f32_e32 v210, v228, v210
	v_dual_add_f32 v205, v224, v205 :: v_dual_sub_f32 v182, v218, v182
	v_mul_f32_e32 v212, 0x3f763a35, v121
	s_delay_alu instid0(VALU_DEP_4)
	v_add_f32_e32 v93, v94, v93
	v_add_f32_e32 v94, v214, v199
	v_mul_f32_e32 v214, 0x3eb8f4ab, v124
	v_add_f32_e32 v92, v182, v201
	v_dual_add_f32 v182, v200, v197 :: v_dual_sub_f32 v197, v203, v216
	v_dual_add_f32 v198, v208, v198 :: v_dual_mul_f32 v201, 0x3f3d2fb0, v119
	v_mul_f32_e32 v203, 0xbf1a4643, v123
	s_delay_alu instid0(VALU_DEP_3) | instskip(NEXT) | instid1(VALU_DEP_3)
	v_dual_mul_f32 v123, 0x3ee437d1, v123 :: v_dual_add_f32 v182, v197, v182
	v_add_f32_e32 v198, v210, v198
	v_dual_add_f32 v210, v219, v211 :: v_dual_sub_f32 v197, v204, v217
	v_dual_mul_f32 v204, 0xbf7ba420, v125 :: v_dual_add_f32 v199, v206, v202
	v_mul_f32_e32 v125, 0x3dbcf732, v125
	v_dual_mul_f32 v228, 0x3f3d2fb0, v112 :: v_dual_add_f32 v93, v94, v93
	s_delay_alu instid0(VALU_DEP_4) | instskip(SKIP_2) | instid1(VALU_DEP_4)
	v_add_f32_e32 v198, v210, v198
	v_add_f32_e32 v210, v222, v213
	v_fmamk_f32 v216, v112, 0x3f6eb680, v214
	v_dual_add_f32 v200, v228, v215 :: v_dual_add_f32 v93, v199, v93
	v_fmamk_f32 v194, v103, 0x3f4c4adb, v203
	v_mul_f32_e32 v206, 0xbf2c7751, v115
	v_mul_f32_e32 v213, 0x3f65296c, v122
	;; [unrolled: 1-line block ×3, first 2 shown]
	v_add_f32_e32 v93, v205, v93
	v_dual_mul_f32 v205, 0x3f6eb680, v119 :: v_dual_add_f32 v198, v210, v198
	v_dual_add_f32 v182, v197, v182 :: v_dual_fmamk_f32 v199, v98, 0x3f3d2fb0, v206
	v_mul_f32_e32 v119, 0x3f6eb680, v127
	v_fmamk_f32 v61, v98, 0x3f6eb680, v115
	s_delay_alu instid0(VALU_DEP_4) | instskip(SKIP_4) | instid1(VALU_DEP_4)
	v_add_f32_e32 v91, v200, v198
	v_fmamk_f32 v198, v100, 0x3f2c7751, v201
	v_mul_f32_e32 v200, 0x3dbcf732, v120
	v_dual_mul_f32 v120, 0x3f3d2fb0, v120 :: v_dual_add_f32 v199, v48, v199
	v_fmamk_f32 v215, v113, 0xbeb8f4ab, v119
	v_add_f32_e32 v176, v49, v198
	s_delay_alu instid0(VALU_DEP_4) | instskip(NEXT) | instid1(VALU_DEP_4)
	v_dual_fmamk_f32 v197, v101, 0x3f7ee86f, v200 :: v_dual_sub_f32 v198, v207, v221
	v_fmamk_f32 v211, v101, 0x3f2c7751, v120
	v_mul_f32_e32 v208, 0xbf06c442, v113
	v_add_f32_e32 v60, v48, v61
	s_delay_alu instid0(VALU_DEP_4) | instskip(NEXT) | instid1(VALU_DEP_3)
	v_dual_add_f32 v176, v197, v176 :: v_dual_add_f32 v197, v198, v182
	v_dual_add_f32 v53, v74, v54 :: v_dual_sub_f32 v198, v209, v208
	v_fmamk_f32 v209, v100, 0x3eb8f4ab, v205
	v_mul_f32_e32 v208, 0xbf4c4adb, v116
	v_add_f32_e32 v52, v49, v138
	s_delay_alu instid0(VALU_DEP_4)
	v_add_f32_e32 v0, v0, v53
	v_dual_fmac_f32 v196, 0xbeb8f4ab, v111 :: v_dual_fmac_f32 v205, 0xbeb8f4ab, v100
	v_dual_add_f32 v209, v49, v209 :: v_dual_fmac_f32 v186, 0x3f2c7751, v103
	v_fmac_f32_e32 v148, 0xbe3c28d5, v109
	v_fmac_f32_e32 v201, 0xbf2c7751, v100
	;; [unrolled: 1-line block ×3, first 2 shown]
	s_delay_alu instid0(VALU_DEP_4) | instskip(SKIP_3) | instid1(VALU_DEP_3)
	v_add_f32_e32 v209, v211, v209
	v_dual_fmamk_f32 v211, v103, 0x3f65296c, v123 :: v_dual_add_f32 v176, v194, v176
	v_fmamk_f32 v182, v105, 0x3e3c28d5, v204
	v_fmac_f32_e32 v123, 0xbf65296c, v103
	v_dual_fmac_f32 v188, 0xbe3c28d5, v107 :: v_dual_add_f32 v209, v211, v209
	v_fmamk_f32 v211, v105, 0x3f7ee86f, v125
	v_mul_f32_e32 v194, 0xbf59a7d5, v128
	v_add_f32_e32 v176, v182, v176
	v_mul_f32_e32 v128, 0xbe8c1d8e, v128
	v_add_f32_e32 v94, v198, v197
	v_add_f32_e32 v209, v211, v209
	v_fmamk_f32 v202, v107, 0xbf06c442, v194
	v_fmac_f32_e32 v180, 0xbf2c7751, v109
	v_fmamk_f32 v211, v107, 0x3f763a35, v128
	v_mul_f32_e32 v182, 0xbe8c1d8e, v131
	v_mul_f32_e32 v131, 0xbf1a4643, v131
	v_dual_add_f32 v197, v202, v176 :: v_dual_mul_f32 v202, 0xbf7ee86f, v114
	s_delay_alu instid0(VALU_DEP_4) | instskip(NEXT) | instid1(VALU_DEP_3)
	v_dual_mul_f32 v176, 0x3ee437d1, v126 :: v_dual_add_f32 v209, v211, v209
	v_fmamk_f32 v211, v109, 0x3f4c4adb, v131
	v_fmamk_f32 v198, v109, 0xbf763a35, v182
	s_delay_alu instid0(VALU_DEP_4) | instskip(SKIP_2) | instid1(VALU_DEP_4)
	v_fmamk_f32 v207, v99, 0x3dbcf732, v202
	v_mul_f32_e32 v114, 0xbf2c7751, v114
	v_mul_f32_e32 v126, 0xbf59a7d5, v126
	v_dual_mul_f32 v210, 0x3f06c442, v118 :: v_dual_add_f32 v197, v198, v197
	v_fmamk_f32 v198, v111, 0xbf65296c, v176
	s_delay_alu instid0(VALU_DEP_4) | instskip(NEXT) | instid1(VALU_DEP_4)
	v_fmamk_f32 v61, v99, 0x3f3d2fb0, v114
	v_fmamk_f32 v57, v111, 0x3f06c442, v126
	v_fmac_f32_e32 v182, 0x3f763a35, v109
	v_fmac_f32_e32 v120, 0xbf2c7751, v101
	v_dual_add_f32 v197, v198, v197 :: v_dual_add_f32 v198, v207, v199
	v_fmamk_f32 v199, v102, 0xbf1a4643, v208
	v_dual_mul_f32 v207, 0xbe3c28d5, v117 :: v_dual_add_f32 v60, v61, v60
	v_fmamk_f32 v61, v102, 0x3ee437d1, v63
	v_fmac_f32_e32 v128, 0xbf763a35, v107
	s_delay_alu instid0(VALU_DEP_3) | instskip(SKIP_2) | instid1(VALU_DEP_3)
	v_dual_add_f32 v198, v199, v198 :: v_dual_fmamk_f32 v199, v104, 0xbf7ba420, v207
	v_fma_f32 v63, 0x3ee437d1, v102, -v63
	v_fmac_f32_e32 v171, 0xbf4c4adb, v113
	v_dual_fmac_f32 v125, 0xbf7ee86f, v105 :: v_dual_add_f32 v198, v199, v198
	v_fmamk_f32 v199, v106, 0xbf59a7d5, v210
	s_delay_alu instid0(VALU_DEP_1) | instskip(NEXT) | instid1(VALU_DEP_1)
	v_dual_add_f32 v198, v199, v198 :: v_dual_fmamk_f32 v199, v108, 0xbe8c1d8e, v212
	v_dual_add_f32 v198, v199, v198 :: v_dual_fmamk_f32 v199, v110, 0x3ee437d1, v213
	s_delay_alu instid0(VALU_DEP_1) | instskip(SKIP_2) | instid1(VALU_DEP_3)
	v_dual_fmac_f32 v176, 0x3f65296c, v111 :: v_dual_add_f32 v199, v199, v198
	v_add_f32_e32 v198, v215, v197
	v_fmac_f32_e32 v131, 0xbf4c4adb, v109
	v_add_f32_e32 v197, v216, v199
	v_add_f32_e32 v199, v211, v209
	s_delay_alu instid0(VALU_DEP_1) | instskip(SKIP_2) | instid1(VALU_DEP_2)
	v_add_f32_e32 v56, v57, v199
	v_dual_add_f32 v57, v61, v60 :: v_dual_mul_f32 v60, 0xbf763a35, v118
	v_mul_f32_e32 v61, 0xbf7ba420, v127
	v_add_f32_e32 v57, v58, v57
	s_delay_alu instid0(VALU_DEP_3) | instskip(NEXT) | instid1(VALU_DEP_3)
	v_fmamk_f32 v58, v106, 0xbe8c1d8e, v60
	v_fmamk_f32 v59, v113, 0x3e3c28d5, v61
	v_fma_f32 v60, 0xbe8c1d8e, v106, -v60
	v_fmac_f32_e32 v119, 0x3eb8f4ab, v113
	v_fmac_f32_e32 v200, 0xbf7ee86f, v101
	v_dual_add_f32 v57, v58, v57 :: v_dual_fmamk_f32 v58, v108, 0xbf1a4643, v68
	v_dual_add_f32 v51, v59, v56 :: v_dual_fmac_f32 v126, 0xbf06c442, v111
	v_fmac_f32_e32 v194, 0x3f06c442, v107
	v_fmac_f32_e32 v142, 0x3f65296c, v113
	s_delay_alu instid0(VALU_DEP_4)
	v_add_f32_e32 v56, v58, v57
	v_fmamk_f32 v57, v110, 0xbf59a7d5, v64
	v_fma_f32 v58, 0x3dbcf732, v102, -v165
	v_fmac_f32_e32 v178, 0xbf06c442, v105
	v_fma_f32 v59, 0x3f3d2fb0, v110, -v134
	v_fmac_f32_e32 v61, 0xbe3c28d5, v113
	v_dual_add_f32 v55, v57, v56 :: v_dual_fmamk_f32 v56, v112, 0xbf7ba420, v65
	v_fma_f32 v57, 0x3ee437d1, v99, -v164
	v_fmac_f32_e32 v204, 0xbe3c28d5, v105
	v_fma_f32 v62, 0x3dbcf732, v104, -v62
	v_fma_f32 v65, 0xbf7ba420, v112, -v65
	v_add_f32_e32 v50, v56, v55
	v_fma_f32 v55, 0xbf7ba420, v98, -v140
	v_fma_f32 v56, 0x3f6eb680, v99, -v143
	s_delay_alu instid0(VALU_DEP_2) | instskip(NEXT) | instid1(VALU_DEP_1)
	v_add_f32_e32 v55, v48, v55
	v_add_f32_e32 v54, v56, v55
	v_fma_f32 v55, 0xbf59a7d5, v102, -v150
	s_delay_alu instid0(VALU_DEP_1) | instskip(SKIP_3) | instid1(VALU_DEP_2)
	v_add_f32_e32 v53, v55, v54
	v_fma_f32 v54, 0x3f3d2fb0, v104, -v152
	v_add_f32_e32 v52, v139, v52
	v_fma_f32 v55, 0x3ee437d1, v108, -v137
	v_dual_add_f32 v53, v54, v53 :: v_dual_add_f32 v52, v141, v52
	v_fma_f32 v54, 0xbf1a4643, v106, -v154
	s_delay_alu instid0(VALU_DEP_2) | instskip(NEXT) | instid1(VALU_DEP_1)
	v_add_f32_e32 v52, v145, v52
	v_add_f32_e32 v52, v151, v52
	s_delay_alu instid0(VALU_DEP_1) | instskip(NEXT) | instid1(VALU_DEP_1)
	v_add_f32_e32 v52, v153, v52
	v_add_f32_e32 v52, v135, v52
	s_delay_alu instid0(VALU_DEP_1) | instskip(SKIP_1) | instid1(VALU_DEP_2)
	v_dual_add_f32 v54, v54, v53 :: v_dual_add_f32 v53, v136, v52
	v_fma_f32 v52, 0xbf59a7d5, v98, -v163
	v_add_f32_e32 v54, v55, v54
	v_fma_f32 v55, 0xbe8c1d8e, v110, -v129
	s_delay_alu instid0(VALU_DEP_3) | instskip(NEXT) | instid1(VALU_DEP_2)
	v_add_f32_e32 v52, v48, v52
	v_add_f32_e32 v54, v55, v54
	v_fma_f32 v55, 0x3dbcf732, v112, -v132
	s_delay_alu instid0(VALU_DEP_1) | instskip(NEXT) | instid1(VALU_DEP_1)
	v_dual_add_f32 v57, v57, v52 :: v_dual_add_f32 v52, v55, v54
	v_add_f32_e32 v55, v58, v57
	v_add_f32_e32 v57, v49, v174
	v_fma_f32 v58, 0xbf1a4643, v98, -v170
	s_delay_alu instid0(VALU_DEP_1) | instskip(NEXT) | instid1(VALU_DEP_1)
	v_dual_add_f32 v57, v175, v57 :: v_dual_add_f32 v58, v48, v58
	v_add_f32_e32 v57, v189, v57
	s_delay_alu instid0(VALU_DEP_1) | instskip(NEXT) | instid1(VALU_DEP_1)
	v_dual_add_f32 v56, v49, v160 :: v_dual_add_f32 v57, v178, v57
	v_add_f32_e32 v56, v133, v56
	s_delay_alu instid0(VALU_DEP_1) | instskip(NEXT) | instid1(VALU_DEP_1)
	v_add_f32_e32 v56, v161, v56
	v_add_f32_e32 v54, v146, v56
	v_fma_f32 v56, 0xbf1a4643, v104, -v156
	v_add_f32_e32 v0, v79, v0
	s_delay_alu instid0(VALU_DEP_2) | instskip(NEXT) | instid1(VALU_DEP_2)
	v_dual_add_f32 v54, v147, v54 :: v_dual_add_f32 v55, v56, v55
	v_add_f32_e32 v0, v77, v0
	v_fma_f32 v56, 0x3f6eb680, v106, -v157
	s_delay_alu instid0(VALU_DEP_3) | instskip(NEXT) | instid1(VALU_DEP_2)
	v_add_f32_e32 v54, v148, v54
	v_add_f32_e32 v55, v56, v55
	v_fma_f32 v56, 0xbf7ba420, v108, -v158
	s_delay_alu instid0(VALU_DEP_3) | instskip(NEXT) | instid1(VALU_DEP_1)
	v_add_f32_e32 v54, v149, v54
	v_dual_add_f32 v56, v56, v55 :: v_dual_add_f32 v55, v130, v54
	v_dual_add_f32 v54, v179, v57 :: v_dual_add_f32 v57, v66, v58
	v_fma_f32 v58, 0x3f6eb680, v102, -v173
	s_delay_alu instid0(VALU_DEP_3) | instskip(SKIP_1) | instid1(VALU_DEP_3)
	v_add_f32_e32 v56, v59, v56
	v_fma_f32 v59, 0xbe8c1d8e, v112, -v144
	v_dual_add_f32 v66, v180, v54 :: v_dual_add_f32 v57, v58, v57
	v_fma_f32 v58, 0xbf59a7d5, v104, -v166
	s_delay_alu instid0(VALU_DEP_3) | instskip(NEXT) | instid1(VALU_DEP_3)
	v_add_f32_e32 v54, v59, v56
	v_add_f32_e32 v56, v169, v66
	v_fma_f32 v66, 0xbe8c1d8e, v98, -v190
	v_add_f32_e32 v59, v49, v185
	v_add_f32_e32 v57, v58, v57
	v_fma_f32 v58, 0x3dbcf732, v106, -v167
	s_delay_alu instid0(VALU_DEP_4) | instskip(NEXT) | instid1(VALU_DEP_4)
	v_add_f32_e32 v66, v48, v66
	v_add_f32_e32 v59, v168, v59
	s_delay_alu instid0(VALU_DEP_3) | instskip(SKIP_1) | instid1(VALU_DEP_1)
	v_add_f32_e32 v57, v58, v57
	v_fma_f32 v58, 0x3f3d2fb0, v108, -v155
	v_add_f32_e32 v58, v58, v57
	s_delay_alu instid0(VALU_DEP_1) | instskip(SKIP_4) | instid1(VALU_DEP_2)
	v_dual_add_f32 v57, v142, v56 :: v_dual_add_f32 v56, v69, v58
	v_add_f32_e32 v69, v49, v201
	v_dual_add_f32 v49, v49, v205 :: v_dual_add_f32 v66, v67, v66
	v_fma_f32 v67, 0x3f3d2fb0, v102, -v193
	v_add_f32_e32 v59, v186, v59
	v_dual_add_f32 v49, v120, v49 :: v_dual_add_f32 v58, v67, v66
	v_fma_f32 v66, 0x3ee437d1, v104, -v195
	v_fma_f32 v67, 0x3ee437d1, v112, -v162
	s_delay_alu instid0(VALU_DEP_3) | instskip(NEXT) | instid1(VALU_DEP_3)
	v_add_f32_e32 v49, v123, v49
	v_dual_add_f32 v59, v187, v59 :: v_dual_add_f32 v58, v66, v58
	v_fma_f32 v66, 0xbf7ba420, v106, -v183
	s_delay_alu instid0(VALU_DEP_3) | instskip(SKIP_2) | instid1(VALU_DEP_3)
	v_dual_add_f32 v49, v125, v49 :: v_dual_add_f32 v56, v67, v56
	v_add_f32_e32 v67, v200, v69
	v_fma_f32 v69, 0x3f3d2fb0, v98, -v206
	v_dual_add_f32 v58, v66, v58 :: v_dual_add_f32 v49, v128, v49
	v_fma_f32 v66, 0x3dbcf732, v108, -v184
	s_delay_alu instid0(VALU_DEP_4) | instskip(SKIP_1) | instid1(VALU_DEP_3)
	v_add_f32_e32 v67, v203, v67
	v_add_f32_e32 v59, v188, v59
	v_dual_add_f32 v49, v131, v49 :: v_dual_add_f32 v58, v66, v58
	v_fma_f32 v66, 0x3f6eb680, v110, -v192
	s_delay_alu instid0(VALU_DEP_4) | instskip(NEXT) | instid1(VALU_DEP_2)
	v_add_f32_e32 v67, v204, v67
	v_dual_add_f32 v59, v181, v59 :: v_dual_add_f32 v58, v66, v58
	v_add_f32_e32 v66, v48, v69
	v_fma_f32 v69, 0x3dbcf732, v99, -v202
	s_delay_alu instid0(VALU_DEP_4) | instskip(NEXT) | instid1(VALU_DEP_4)
	v_add_f32_e32 v67, v194, v67
	v_dual_add_f32 v59, v196, v59 :: v_dual_add_f32 v58, v70, v58
	v_fma_f32 v70, 0x3f6eb680, v98, -v115
	s_delay_alu instid0(VALU_DEP_4) | instskip(SKIP_2) | instid1(VALU_DEP_4)
	v_add_f32_e32 v66, v69, v66
	v_fma_f32 v69, 0xbf1a4643, v102, -v208
	v_add_f32_e32 v67, v182, v67
	v_dual_add_f32 v59, v171, v59 :: v_dual_add_f32 v48, v48, v70
	v_fma_f32 v70, 0xbf59a7d5, v106, -v210
	s_delay_alu instid0(VALU_DEP_4) | instskip(SKIP_1) | instid1(VALU_DEP_1)
	v_add_f32_e32 v66, v69, v66
	v_fma_f32 v69, 0xbf7ba420, v104, -v207
	v_add_f32_e32 v66, v69, v66
	v_fma_f32 v69, 0x3f3d2fb0, v99, -v114
	s_delay_alu instid0(VALU_DEP_2) | instskip(NEXT) | instid1(VALU_DEP_2)
	v_add_f32_e32 v66, v70, v66
	v_add_f32_e32 v48, v69, v48
	v_fma_f32 v69, 0xbe8c1d8e, v108, -v212
	s_delay_alu instid0(VALU_DEP_2) | instskip(NEXT) | instid1(VALU_DEP_2)
	v_add_f32_e32 v48, v63, v48
	v_dual_add_f32 v66, v69, v66 :: v_dual_add_f32 v63, v176, v67
	v_add_f32_e32 v67, v126, v49
	s_delay_alu instid0(VALU_DEP_3) | instskip(SKIP_1) | instid1(VALU_DEP_2)
	v_add_f32_e32 v48, v62, v48
	v_fma_f32 v62, 0x3ee437d1, v110, -v213
	v_add_f32_e32 v48, v60, v48
	v_fma_f32 v60, 0xbf1a4643, v108, -v68
	s_delay_alu instid0(VALU_DEP_3) | instskip(SKIP_1) | instid1(VALU_DEP_3)
	v_add_f32_e32 v62, v62, v66
	v_mul_lo_u16 v66, v96, 17
	v_dual_add_f32 v49, v119, v63 :: v_dual_add_f32 v48, v60, v48
	v_fma_f32 v60, 0xbf59a7d5, v110, -v64
	s_delay_alu instid0(VALU_DEP_3) | instskip(SKIP_1) | instid1(VALU_DEP_3)
	v_and_b32_e32 v66, 0xffff, v66
	v_fma_f32 v64, 0x3f6eb680, v112, -v214
	v_add_f32_e32 v60, v60, v48
	s_delay_alu instid0(VALU_DEP_3) | instskip(NEXT) | instid1(VALU_DEP_3)
	v_lshlrev_b32_e32 v66, 3, v66
	v_dual_add_f32 v48, v64, v62 :: v_dual_add_f32 v61, v61, v67
	s_delay_alu instid0(VALU_DEP_3)
	v_add_f32_e32 v60, v65, v60
	ds_store_2addr_b64 v66, v[0:1], v[50:51] offset1:1
	ds_store_2addr_b64 v66, v[197:198], v[93:94] offset0:2 offset1:3
	ds_store_2addr_b64 v66, v[91:92], v[89:90] offset0:4 offset1:5
	;; [unrolled: 1-line block ×7, first 2 shown]
	ds_store_b64 v66, v[60:61] offset:128
.LBB0_17:
	s_wait_alu 0xfffe
	s_or_b32 exec_lo, exec_lo, s1
	global_wb scope:SCOPE_SE
	s_wait_dscnt 0x0
	s_barrier_signal -1
	s_barrier_wait -1
	global_inv scope:SCOPE_SE
	ds_load_2addr_b64 v[49:52], v95 offset1:51
	ds_load_2addr_b64 v[53:56], v95 offset0:102 offset1:153
	ds_load_2addr_b64 v[57:60], v95 offset0:204 offset1:255
	v_add_nc_u32_e32 v48, 0x800, v95
	s_wait_dscnt 0x2
	v_dual_mul_f32 v75, v25, v52 :: v_dual_add_nc_u32 v0, 0xc00, v95
	ds_load_b64 v[73:74], v95 offset:4896
	ds_load_2addr_b64 v[61:64], v48 offset0:50 offset1:101
	ds_load_2addr_b64 v[65:68], v48 offset0:152 offset1:203
	;; [unrolled: 1-line block ×3, first 2 shown]
	s_wait_dscnt 0x5
	v_dual_mul_f32 v0, v25, v51 :: v_dual_mul_f32 v1, v27, v53
	v_mul_f32_e32 v25, v27, v54
	s_wait_dscnt 0x4
	v_dual_mul_f32 v27, v21, v56 :: v_dual_mul_f32 v78, v23, v58
	v_mul_f32_e32 v77, v21, v55
	v_fmac_f32_e32 v75, v24, v51
	v_fma_f32 v24, v24, v52, -v0
	v_fmac_f32_e32 v25, v26, v53
	v_fma_f32 v26, v26, v54, -v1
	v_mul_f32_e32 v1, v13, v59
	v_dual_fmac_f32 v27, v20, v55 :: v_dual_fmac_f32 v78, v22, v57
	v_fma_f32 v51, v20, v56, -v77
	global_wb scope:SCOPE_SE
	s_wait_dscnt 0x0
	v_fma_f32 v20, v12, v60, -v1
	s_barrier_signal -1
	v_dual_mul_f32 v0, v15, v62 :: v_dual_mul_f32 v21, v13, v60
	v_mul_f32_e32 v1, v5, v64
	v_mul_f32_e32 v5, v5, v63
	s_barrier_wait -1
	s_delay_alu instid0(VALU_DEP_3)
	v_dual_fmac_f32 v0, v14, v61 :: v_dual_fmac_f32 v21, v12, v59
	v_dual_mul_f32 v12, v15, v61 :: v_dual_add_f32 v15, v50, v24
	v_fmac_f32_e32 v1, v4, v63
	v_add_f32_e32 v13, v49, v75
	global_inv scope:SCOPE_SE
	v_fma_f32 v12, v14, v62, -v12
	v_add_f32_e32 v14, v15, v26
	v_mul_f32_e32 v15, v7, v66
	s_delay_alu instid0(VALU_DEP_2) | instskip(NEXT) | instid1(VALU_DEP_2)
	v_dual_mul_f32 v23, v23, v57 :: v_dual_add_f32 v14, v14, v51
	v_fmac_f32_e32 v15, v6, v65
	v_add_f32_e32 v13, v13, v25
	s_delay_alu instid0(VALU_DEP_3) | instskip(NEXT) | instid1(VALU_DEP_2)
	v_fma_f32 v22, v22, v58, -v23
	v_add_f32_e32 v23, v13, v27
	v_fma_f32 v13, v4, v64, -v5
	s_delay_alu instid0(VALU_DEP_3) | instskip(NEXT) | instid1(VALU_DEP_3)
	v_dual_mul_f32 v4, v7, v65 :: v_dual_add_f32 v7, v14, v22
	v_dual_mul_f32 v14, v17, v68 :: v_dual_add_f32 v5, v23, v78
	s_delay_alu instid0(VALU_DEP_2) | instskip(NEXT) | instid1(VALU_DEP_3)
	v_fma_f32 v6, v6, v66, -v4
	v_dual_mul_f32 v4, v17, v67 :: v_dual_add_f32 v7, v7, v20
	s_delay_alu instid0(VALU_DEP_3) | instskip(SKIP_1) | instid1(VALU_DEP_3)
	v_dual_add_f32 v5, v5, v21 :: v_dual_fmac_f32 v14, v16, v67
	v_mul_f32_e32 v17, v19, v70
	v_fma_f32 v16, v16, v68, -v4
	s_delay_alu instid0(VALU_DEP_3) | instskip(SKIP_3) | instid1(VALU_DEP_4)
	v_add_f32_e32 v4, v5, v0
	v_add_f32_e32 v5, v7, v12
	v_mul_f32_e32 v7, v19, v69
	v_fmac_f32_e32 v17, v18, v69
	v_dual_mul_f32 v19, v9, v72 :: v_dual_add_f32 v4, v4, v1
	s_delay_alu instid0(VALU_DEP_4) | instskip(NEXT) | instid1(VALU_DEP_4)
	v_add_f32_e32 v5, v5, v13
	v_fma_f32 v7, v18, v70, -v7
	v_mul_f32_e32 v18, v11, v73
	v_mul_f32_e32 v11, v11, v74
	v_fmac_f32_e32 v19, v8, v71
	s_delay_alu instid0(VALU_DEP_3) | instskip(NEXT) | instid1(VALU_DEP_1)
	v_fma_f32 v18, v10, v74, -v18
	v_dual_fmac_f32 v11, v10, v73 :: v_dual_sub_f32 v10, v24, v18
	v_add_f32_e32 v24, v24, v18
	s_delay_alu instid0(VALU_DEP_2) | instskip(SKIP_1) | instid1(VALU_DEP_4)
	v_dual_add_f32 v5, v5, v6 :: v_dual_sub_f32 v52, v75, v11
	v_add_f32_e32 v4, v4, v15
	v_mul_f32_e32 v58, 0xbf7e222b, v10
	s_delay_alu instid0(VALU_DEP_4) | instskip(SKIP_1) | instid1(VALU_DEP_4)
	v_dual_mul_f32 v60, 0x3df6dbef, v24 :: v_dual_mul_f32 v9, v9, v71
	v_mul_f32_e32 v64, 0xbeb58ec6, v24
	v_add_f32_e32 v4, v4, v14
	v_mul_f32_e32 v66, 0xbf29c268, v10
	s_delay_alu instid0(VALU_DEP_4) | instskip(SKIP_2) | instid1(VALU_DEP_3)
	v_dual_fmamk_f32 v62, v52, 0x3f7e222b, v60 :: v_dual_add_f32 v5, v5, v16
	v_fma_f32 v8, v8, v72, -v9
	v_dual_fmac_f32 v60, 0xbf7e222b, v52 :: v_dual_add_f32 v9, v75, v11
	v_dual_add_f32 v62, v50, v62 :: v_dual_add_f32 v5, v5, v7
	v_dual_add_f32 v4, v4, v17 :: v_dual_mul_f32 v23, 0xbeedf032, v10
	s_delay_alu instid0(VALU_DEP_3) | instskip(NEXT) | instid1(VALU_DEP_3)
	v_dual_add_f32 v60, v50, v60 :: v_dual_fmamk_f32 v59, v9, 0x3df6dbef, v58
	v_add_f32_e32 v5, v5, v8
	v_fma_f32 v58, 0x3df6dbef, v9, -v58
	s_delay_alu instid0(VALU_DEP_4) | instskip(SKIP_1) | instid1(VALU_DEP_4)
	v_add_f32_e32 v4, v4, v19
	v_fmamk_f32 v65, v52, 0x3f6f5d39, v64
	v_dual_fmac_f32 v64, 0xbf6f5d39, v52 :: v_dual_add_f32 v5, v5, v18
	s_delay_alu instid0(VALU_DEP_4) | instskip(NEXT) | instid1(VALU_DEP_4)
	v_add_f32_e32 v58, v49, v58
	v_dual_fmamk_f32 v53, v9, 0x3f62ad3f, v23 :: v_dual_add_f32 v4, v4, v11
	s_delay_alu instid0(VALU_DEP_3) | instskip(SKIP_1) | instid1(VALU_DEP_3)
	v_add_f32_e32 v64, v50, v64
	v_dual_mul_f32 v67, 0xbf3f9e67, v24 :: v_dual_fmamk_f32 v68, v9, 0xbf3f9e67, v66
	v_add_f32_e32 v11, v49, v53
	v_mul_f32_e32 v53, 0xbf52af12, v10
	v_fma_f32 v23, 0x3f62ad3f, v9, -v23
	v_fma_f32 v66, 0xbf3f9e67, v9, -v66
	v_add_f32_e32 v68, v49, v68
	s_delay_alu instid0(VALU_DEP_4) | instskip(SKIP_1) | instid1(VALU_DEP_4)
	v_dual_mul_f32 v55, 0x3f116cb1, v24 :: v_dual_fmamk_f32 v56, v9, 0x3f116cb1, v53
	v_mul_f32_e32 v54, 0x3f62ad3f, v24
	v_add_f32_e32 v66, v49, v66
	v_dual_add_f32 v23, v49, v23 :: v_dual_mul_f32 v24, 0xbf788fa5, v24
	s_delay_alu instid0(VALU_DEP_4) | instskip(SKIP_2) | instid1(VALU_DEP_4)
	v_dual_add_f32 v56, v49, v56 :: v_dual_mul_f32 v61, 0xbf6f5d39, v10
	v_mul_f32_e32 v10, 0xbe750f2a, v10
	v_fma_f32 v53, 0x3f116cb1, v9, -v53
	v_dual_add_f32 v65, v50, v65 :: v_dual_fmamk_f32 v72, v52, 0x3e750f2a, v24
	v_fmac_f32_e32 v24, 0xbe750f2a, v52
	s_delay_alu instid0(VALU_DEP_4) | instskip(SKIP_2) | instid1(VALU_DEP_4)
	v_fmamk_f32 v70, v9, 0xbf788fa5, v10
	v_fmamk_f32 v57, v52, 0x3f52af12, v55
	v_add_f32_e32 v53, v49, v53
	v_dual_fmamk_f32 v63, v9, 0xbeb58ec6, v61 :: v_dual_add_f32 v24, v50, v24
	v_fma_f32 v61, 0xbeb58ec6, v9, -v61
	s_delay_alu instid0(VALU_DEP_4)
	v_dual_add_f32 v70, v49, v70 :: v_dual_add_f32 v57, v50, v57
	v_fma_f32 v9, 0xbf788fa5, v9, -v10
	v_sub_f32_e32 v10, v25, v19
	v_add_f32_e32 v73, v25, v19
	v_sub_f32_e32 v71, v26, v8
	v_fmac_f32_e32 v55, 0xbf52af12, v52
	v_add_f32_e32 v8, v26, v8
	v_fmamk_f32 v18, v52, 0x3eedf032, v54
	v_fmac_f32_e32 v54, 0xbeedf032, v52
	v_mul_f32_e32 v74, 0xbf52af12, v71
	v_add_f32_e32 v55, v50, v55
	s_delay_alu instid0(VALU_DEP_4) | instskip(NEXT) | instid1(VALU_DEP_3)
	v_dual_mul_f32 v25, 0x3f116cb1, v8 :: v_dual_add_f32 v18, v50, v18
	v_dual_add_f32 v54, v50, v54 :: v_dual_fmamk_f32 v19, v73, 0x3f116cb1, v74
	v_dual_add_f32 v59, v49, v59 :: v_dual_add_f32 v26, v50, v72
	v_fmamk_f32 v69, v52, 0x3f29c268, v67
	v_fmac_f32_e32 v67, 0xbf29c268, v52
	v_add_f32_e32 v9, v49, v9
	v_add_f32_e32 v11, v19, v11
	v_fmamk_f32 v19, v10, 0x3f52af12, v25
	v_add_f32_e32 v63, v49, v63
	v_fmac_f32_e32 v25, 0xbf52af12, v10
	v_dual_mul_f32 v52, 0xbeb58ec6, v8 :: v_dual_add_f32 v61, v49, v61
	v_mul_f32_e32 v49, 0xbf6f5d39, v71
	v_dual_add_f32 v67, v50, v67 :: v_dual_mul_f32 v72, 0xbf3f9e67, v8
	v_add_f32_e32 v18, v19, v18
	v_add_f32_e32 v25, v25, v54
	s_delay_alu instid0(VALU_DEP_4) | instskip(NEXT) | instid1(VALU_DEP_1)
	v_fmamk_f32 v19, v73, 0xbeb58ec6, v49
	v_dual_mul_f32 v54, 0xbe750f2a, v71 :: v_dual_add_f32 v19, v19, v56
	s_delay_alu instid0(VALU_DEP_1) | instskip(SKIP_1) | instid1(VALU_DEP_1)
	v_fmamk_f32 v56, v73, 0xbf788fa5, v54
	v_fma_f32 v54, 0xbf788fa5, v73, -v54
	v_add_f32_e32 v54, v54, v58
	v_add_f32_e32 v69, v50, v69
	v_fma_f32 v50, 0x3f116cb1, v73, -v74
	s_delay_alu instid0(VALU_DEP_1) | instskip(SKIP_2) | instid1(VALU_DEP_2)
	v_add_f32_e32 v23, v50, v23
	v_fmamk_f32 v50, v10, 0x3f6f5d39, v52
	v_fmac_f32_e32 v52, 0xbf6f5d39, v10
	v_dual_add_f32 v50, v50, v57 :: v_dual_mul_f32 v57, 0xbf788fa5, v8
	s_delay_alu instid0(VALU_DEP_2) | instskip(NEXT) | instid1(VALU_DEP_2)
	v_add_f32_e32 v52, v52, v55
	v_dual_add_f32 v55, v56, v59 :: v_dual_fmamk_f32 v56, v10, 0x3e750f2a, v57
	v_fma_f32 v49, 0xbeb58ec6, v73, -v49
	v_fmac_f32_e32 v57, 0xbe750f2a, v10
	s_delay_alu instid0(VALU_DEP_2) | instskip(SKIP_4) | instid1(VALU_DEP_4)
	v_dual_add_f32 v56, v56, v62 :: v_dual_add_f32 v49, v49, v53
	v_mul_f32_e32 v53, 0x3f29c268, v71
	v_mul_f32_e32 v62, 0x3df6dbef, v8
	;; [unrolled: 1-line block ×3, first 2 shown]
	v_dual_add_f32 v57, v57, v60 :: v_dual_mul_f32 v60, 0x3f7e222b, v71
	v_fmamk_f32 v59, v73, 0xbf3f9e67, v53
	v_fma_f32 v53, 0xbf3f9e67, v73, -v53
	s_delay_alu instid0(VALU_DEP_2) | instskip(NEXT) | instid1(VALU_DEP_4)
	v_dual_add_f32 v58, v59, v63 :: v_dual_fmamk_f32 v59, v10, 0xbf29c268, v72
	v_fmamk_f32 v63, v73, 0x3df6dbef, v60
	v_fma_f32 v60, 0x3df6dbef, v73, -v60
	s_delay_alu instid0(VALU_DEP_4)
	v_add_f32_e32 v53, v53, v61
	v_fmamk_f32 v61, v10, 0xbf7e222b, v62
	v_fmac_f32_e32 v62, 0x3f7e222b, v10
	v_fmac_f32_e32 v72, 0x3f29c268, v10
	v_add_f32_e32 v60, v60, v66
	v_sub_f32_e32 v66, v51, v7
	v_add_f32_e32 v59, v59, v65
	v_mul_f32_e32 v65, 0x3eedf032, v71
	v_dual_add_f32 v63, v63, v68 :: v_dual_add_f32 v62, v62, v67
	v_add_f32_e32 v7, v51, v7
	v_add_f32_e32 v61, v61, v69
	s_delay_alu instid0(VALU_DEP_4) | instskip(SKIP_1) | instid1(VALU_DEP_4)
	v_dual_fmamk_f32 v68, v73, 0x3f62ad3f, v65 :: v_dual_add_f32 v69, v27, v17
	v_fma_f32 v51, 0x3f62ad3f, v73, -v65
	v_dual_add_f32 v64, v72, v64 :: v_dual_mul_f32 v65, 0xbf788fa5, v7
	s_delay_alu instid0(VALU_DEP_3) | instskip(SKIP_4) | instid1(VALU_DEP_3)
	v_add_f32_e32 v67, v68, v70
	v_mul_f32_e32 v70, 0xbf7e222b, v66
	v_fmamk_f32 v68, v10, 0xbeedf032, v8
	v_fmac_f32_e32 v8, 0x3eedf032, v10
	v_dual_sub_f32 v10, v27, v17 :: v_dual_mul_f32 v27, 0x3df6dbef, v7
	v_dual_fmamk_f32 v17, v69, 0x3df6dbef, v70 :: v_dual_add_f32 v26, v68, v26
	v_dual_add_f32 v9, v51, v9 :: v_dual_mul_f32 v68, 0x3f62ad3f, v7
	s_delay_alu instid0(VALU_DEP_2) | instskip(NEXT) | instid1(VALU_DEP_4)
	v_dual_add_f32 v8, v8, v24 :: v_dual_add_f32 v11, v17, v11
	v_fmamk_f32 v17, v10, 0x3f7e222b, v27
	v_mul_f32_e32 v24, 0xbe750f2a, v66
	v_fma_f32 v51, 0x3df6dbef, v69, -v70
	v_fmac_f32_e32 v27, 0xbf7e222b, v10
	s_delay_alu instid0(VALU_DEP_4) | instskip(NEXT) | instid1(VALU_DEP_3)
	v_add_f32_e32 v17, v17, v18
	v_dual_fmamk_f32 v18, v69, 0xbf788fa5, v24 :: v_dual_add_f32 v23, v51, v23
	s_delay_alu instid0(VALU_DEP_3) | instskip(SKIP_1) | instid1(VALU_DEP_3)
	v_add_f32_e32 v25, v27, v25
	v_fmamk_f32 v27, v10, 0x3e750f2a, v65
	v_dual_mul_f32 v51, 0x3f6f5d39, v66 :: v_dual_add_f32 v18, v18, v19
	v_fma_f32 v19, 0xbf788fa5, v69, -v24
	s_delay_alu instid0(VALU_DEP_2) | instskip(SKIP_1) | instid1(VALU_DEP_2)
	v_dual_add_f32 v24, v27, v50 :: v_dual_fmamk_f32 v27, v69, 0xbeb58ec6, v51
	v_mul_f32_e32 v50, 0xbeb58ec6, v7
	v_add_f32_e32 v27, v27, v55
	s_delay_alu instid0(VALU_DEP_2) | instskip(NEXT) | instid1(VALU_DEP_1)
	v_fmamk_f32 v55, v10, 0xbf6f5d39, v50
	v_dual_fmac_f32 v50, 0x3f6f5d39, v10 :: v_dual_add_f32 v55, v55, v56
	s_delay_alu instid0(VALU_DEP_1) | instskip(SKIP_3) | instid1(VALU_DEP_3)
	v_add_f32_e32 v50, v50, v57
	v_fmamk_f32 v56, v10, 0xbeedf032, v68
	v_mul_f32_e32 v57, 0xbf52af12, v66
	v_fmac_f32_e32 v68, 0x3eedf032, v10
	v_dual_fmac_f32 v65, 0xbe750f2a, v10 :: v_dual_add_f32 v56, v56, v59
	s_delay_alu instid0(VALU_DEP_3) | instskip(SKIP_1) | instid1(VALU_DEP_4)
	v_fmamk_f32 v59, v69, 0x3f116cb1, v57
	v_fma_f32 v57, 0x3f116cb1, v69, -v57
	v_add_f32_e32 v64, v68, v64
	s_delay_alu instid0(VALU_DEP_2)
	v_add_f32_e32 v57, v57, v60
	v_dual_sub_f32 v60, v22, v16 :: v_dual_add_f32 v19, v19, v49
	v_dual_add_f32 v16, v22, v16 :: v_dual_add_f32 v59, v59, v63
	v_add_f32_e32 v63, v78, v14
	v_dual_add_f32 v49, v65, v52 :: v_dual_mul_f32 v52, 0x3eedf032, v66
	v_fma_f32 v51, 0xbeb58ec6, v69, -v51
	s_delay_alu instid0(VALU_DEP_2) | instskip(NEXT) | instid1(VALU_DEP_2)
	v_fmamk_f32 v65, v69, 0x3f62ad3f, v52
	v_add_f32_e32 v51, v51, v54
	v_fma_f32 v52, 0x3f62ad3f, v69, -v52
	s_delay_alu instid0(VALU_DEP_3) | instskip(SKIP_1) | instid1(VALU_DEP_3)
	v_add_f32_e32 v54, v65, v58
	v_mul_f32_e32 v58, 0x3f116cb1, v7
	v_dual_add_f32 v52, v52, v53 :: v_dual_mul_f32 v65, 0xbf29c268, v66
	v_mul_f32_e32 v66, 0xbf6f5d39, v60
	s_delay_alu instid0(VALU_DEP_3) | instskip(SKIP_1) | instid1(VALU_DEP_4)
	v_fmamk_f32 v53, v10, 0x3f52af12, v58
	v_fmac_f32_e32 v58, 0xbf52af12, v10
	v_fma_f32 v22, 0xbf3f9e67, v69, -v65
	s_delay_alu instid0(VALU_DEP_3) | instskip(NEXT) | instid1(VALU_DEP_3)
	v_add_f32_e32 v53, v53, v61
	v_dual_mul_f32 v7, 0xbf3f9e67, v7 :: v_dual_add_f32 v58, v58, v62
	s_delay_alu instid0(VALU_DEP_1) | instskip(SKIP_3) | instid1(VALU_DEP_4)
	v_fmamk_f32 v62, v10, 0x3f29c268, v7
	v_fmac_f32_e32 v7, 0xbf29c268, v10
	v_sub_f32_e32 v10, v78, v14
	v_dual_fmamk_f32 v14, v63, 0xbeb58ec6, v66 :: v_dual_add_f32 v9, v22, v9
	v_add_f32_e32 v26, v62, v26
	v_dual_mul_f32 v62, 0xbf3f9e67, v16 :: v_dual_fmamk_f32 v61, v69, 0xbf3f9e67, v65
	v_mul_f32_e32 v65, 0xbeb58ec6, v16
	s_delay_alu instid0(VALU_DEP_4) | instskip(SKIP_2) | instid1(VALU_DEP_4)
	v_dual_add_f32 v7, v7, v8 :: v_dual_add_f32 v8, v14, v11
	v_mul_f32_e32 v14, 0x3f29c268, v60
	v_fma_f32 v22, 0xbeb58ec6, v63, -v66
	v_fmamk_f32 v11, v10, 0x3f6f5d39, v65
	v_fmac_f32_e32 v65, 0xbf6f5d39, v10
	v_mul_f32_e32 v66, 0x3df6dbef, v16
	s_delay_alu instid0(VALU_DEP_3)
	v_dual_add_f32 v22, v22, v23 :: v_dual_add_f32 v11, v11, v17
	v_fmamk_f32 v17, v63, 0xbf3f9e67, v14
	v_fma_f32 v14, 0xbf3f9e67, v63, -v14
	v_add_f32_e32 v23, v65, v25
	v_fmamk_f32 v25, v10, 0xbf29c268, v62
	v_fmac_f32_e32 v62, 0x3f29c268, v10
	s_delay_alu instid0(VALU_DEP_4) | instskip(SKIP_1) | instid1(VALU_DEP_3)
	v_dual_add_f32 v17, v17, v18 :: v_dual_add_f32 v14, v14, v19
	v_mul_f32_e32 v65, 0x3eedf032, v60
	v_dual_add_f32 v18, v25, v24 :: v_dual_add_f32 v19, v62, v49
	v_mul_f32_e32 v25, 0x3f62ad3f, v16
	v_mul_f32_e32 v49, 0xbf7e222b, v60
	s_delay_alu instid0(VALU_DEP_4) | instskip(SKIP_1) | instid1(VALU_DEP_2)
	v_fmamk_f32 v24, v63, 0x3f62ad3f, v65
	v_fma_f32 v62, 0x3f62ad3f, v63, -v65
	v_dual_add_f32 v24, v24, v27 :: v_dual_fmamk_f32 v27, v10, 0xbeedf032, v25
	v_fmac_f32_e32 v25, 0x3eedf032, v10
	s_delay_alu instid0(VALU_DEP_2) | instskip(SKIP_1) | instid1(VALU_DEP_3)
	v_add_f32_e32 v27, v27, v55
	v_fmamk_f32 v65, v63, 0x3df6dbef, v49
	v_add_f32_e32 v25, v25, v50
	v_mul_f32_e32 v55, 0x3e750f2a, v60
	v_fma_f32 v49, 0x3df6dbef, v63, -v49
	v_mul_f32_e32 v60, 0x3f52af12, v60
	v_add_f32_e32 v50, v65, v54
	v_fmamk_f32 v54, v10, 0x3f7e222b, v66
	v_fmac_f32_e32 v66, 0xbf7e222b, v10
	s_delay_alu instid0(VALU_DEP_2) | instskip(SKIP_2) | instid1(VALU_DEP_4)
	v_add_f32_e32 v54, v54, v56
	v_fmamk_f32 v56, v63, 0xbf788fa5, v55
	v_fma_f32 v55, 0xbf788fa5, v63, -v55
	v_add_f32_e32 v64, v66, v64
	s_delay_alu instid0(VALU_DEP_3) | instskip(SKIP_1) | instid1(VALU_DEP_4)
	v_add_f32_e32 v56, v56, v59
	v_add_f32_e32 v61, v61, v67
	;; [unrolled: 1-line block ×3, first 2 shown]
	v_sub_f32_e32 v57, v20, v6
	v_dual_add_f32 v51, v62, v51 :: v_dual_mul_f32 v62, 0xbf788fa5, v16
	v_dual_add_f32 v6, v20, v6 :: v_dual_add_f32 v49, v49, v52
	v_mul_f32_e32 v16, 0x3f116cb1, v16
	v_fma_f32 v20, 0x3f116cb1, v63, -v60
	s_delay_alu instid0(VALU_DEP_4) | instskip(SKIP_1) | instid1(VALU_DEP_2)
	v_fmamk_f32 v52, v10, 0xbe750f2a, v62
	v_fmac_f32_e32 v62, 0x3e750f2a, v10
	v_dual_add_f32 v52, v52, v53 :: v_dual_fmamk_f32 v53, v63, 0x3f116cb1, v60
	s_delay_alu instid0(VALU_DEP_2) | instskip(SKIP_1) | instid1(VALU_DEP_3)
	v_add_f32_e32 v58, v62, v58
	v_mul_f32_e32 v62, 0xbf29c268, v57
	v_dual_mul_f32 v60, 0xbf788fa5, v6 :: v_dual_add_f32 v53, v53, v61
	v_add_f32_e32 v61, v21, v15
	v_fmamk_f32 v59, v10, 0xbf52af12, v16
	v_fmac_f32_e32 v16, 0x3f52af12, v10
	v_dual_sub_f32 v10, v21, v15 :: v_dual_mul_f32 v21, 0xbf3f9e67, v6
	s_delay_alu instid0(VALU_DEP_4) | instskip(SKIP_1) | instid1(VALU_DEP_4)
	v_fmamk_f32 v15, v61, 0xbf3f9e67, v62
	v_add_f32_e32 v9, v20, v9
	v_dual_add_f32 v7, v16, v7 :: v_dual_mul_f32 v16, 0x3f7e222b, v57
	v_fma_f32 v20, 0xbf3f9e67, v61, -v62
	s_delay_alu instid0(VALU_DEP_4) | instskip(SKIP_3) | instid1(VALU_DEP_4)
	v_dual_add_f32 v8, v15, v8 :: v_dual_fmamk_f32 v15, v10, 0x3f29c268, v21
	v_add_f32_e32 v26, v59, v26
	v_fmac_f32_e32 v21, 0xbf29c268, v10
	v_mul_f32_e32 v59, 0x3df6dbef, v6
	v_dual_add_f32 v20, v20, v22 :: v_dual_add_f32 v11, v15, v11
	v_fmamk_f32 v15, v61, 0x3df6dbef, v16
	s_delay_alu instid0(VALU_DEP_3) | instskip(SKIP_2) | instid1(VALU_DEP_4)
	v_dual_add_f32 v21, v21, v23 :: v_dual_fmamk_f32 v22, v10, 0xbf7e222b, v59
	v_mul_f32_e32 v23, 0xbf52af12, v57
	v_fma_f32 v16, 0x3df6dbef, v61, -v16
	v_add_f32_e32 v15, v15, v17
	v_fmac_f32_e32 v59, 0x3f7e222b, v10
	s_delay_alu instid0(VALU_DEP_4) | instskip(SKIP_2) | instid1(VALU_DEP_4)
	v_dual_add_f32 v17, v22, v18 :: v_dual_fmamk_f32 v18, v61, 0x3f116cb1, v23
	v_mul_f32_e32 v22, 0x3f116cb1, v6
	v_add_f32_e32 v14, v16, v14
	v_dual_add_f32 v16, v59, v19 :: v_dual_mul_f32 v19, 0x3e750f2a, v57
	s_delay_alu instid0(VALU_DEP_4) | instskip(NEXT) | instid1(VALU_DEP_4)
	v_add_f32_e32 v18, v18, v24
	v_fmamk_f32 v24, v10, 0x3f52af12, v22
	v_fmac_f32_e32 v22, 0xbf52af12, v10
	s_delay_alu instid0(VALU_DEP_2) | instskip(NEXT) | instid1(VALU_DEP_2)
	v_dual_fmamk_f32 v59, v61, 0xbf788fa5, v19 :: v_dual_add_f32 v24, v24, v27
	v_add_f32_e32 v22, v22, v25
	v_fmamk_f32 v27, v10, 0xbe750f2a, v60
	s_delay_alu instid0(VALU_DEP_3) | instskip(SKIP_3) | instid1(VALU_DEP_4)
	v_dual_add_f32 v25, v59, v50 :: v_dual_mul_f32 v50, 0x3eedf032, v57
	v_fma_f32 v23, 0x3f116cb1, v61, -v23
	v_fmac_f32_e32 v60, 0x3e750f2a, v10
	v_fma_f32 v19, 0xbf788fa5, v61, -v19
	v_dual_add_f32 v27, v27, v54 :: v_dual_fmamk_f32 v54, v61, 0x3f62ad3f, v50
	v_fma_f32 v50, 0x3f62ad3f, v61, -v50
	s_delay_alu instid0(VALU_DEP_4) | instskip(SKIP_1) | instid1(VALU_DEP_3)
	v_add_f32_e32 v59, v60, v64
	v_dual_add_f32 v60, v12, v13 :: v_dual_add_f32 v23, v23, v51
	v_dual_mul_f32 v51, 0x3f62ad3f, v6 :: v_dual_add_f32 v50, v50, v55
	v_sub_f32_e32 v55, v12, v13
	v_add_f32_e32 v19, v19, v49
	v_mul_f32_e32 v57, 0xbf6f5d39, v57
	s_delay_alu instid0(VALU_DEP_4) | instskip(SKIP_2) | instid1(VALU_DEP_3)
	v_fmamk_f32 v49, v10, 0xbeedf032, v51
	v_dual_add_f32 v54, v54, v56 :: v_dual_fmac_f32 v51, 0x3eedf032, v10
	v_mul_f32_e32 v6, 0xbeb58ec6, v6
	v_dual_add_f32 v56, v0, v1 :: v_dual_add_f32 v49, v49, v52
	s_delay_alu instid0(VALU_DEP_3) | instskip(SKIP_3) | instid1(VALU_DEP_4)
	v_dual_fmamk_f32 v52, v61, 0xbeb58ec6, v57 :: v_dual_add_f32 v51, v51, v58
	v_mul_f32_e32 v58, 0xbe750f2a, v55
	v_fma_f32 v12, 0xbeb58ec6, v61, -v57
	v_sub_f32_e32 v57, v0, v1
	v_dual_add_f32 v52, v52, v53 :: v_dual_fmamk_f32 v53, v10, 0x3f6f5d39, v6
	v_fmac_f32_e32 v6, 0xbf6f5d39, v10
	v_fmamk_f32 v0, v56, 0xbf788fa5, v58
	s_delay_alu instid0(VALU_DEP_3) | instskip(SKIP_2) | instid1(VALU_DEP_4)
	v_dual_mul_f32 v13, 0xbf29c268, v55 :: v_dual_add_f32 v26, v53, v26
	v_add_f32_e32 v53, v12, v9
	v_mul_f32_e32 v1, 0xbf788fa5, v60
	v_dual_add_f32 v61, v6, v7 :: v_dual_add_f32 v6, v0, v8
	v_mul_f32_e32 v9, 0x3eedf032, v55
	v_mul_f32_e32 v12, 0x3f62ad3f, v60
	s_delay_alu instid0(VALU_DEP_4) | instskip(SKIP_1) | instid1(VALU_DEP_4)
	v_fmamk_f32 v0, v57, 0x3e750f2a, v1
	v_fma_f32 v8, 0xbf788fa5, v56, -v58
	v_fmamk_f32 v10, v56, 0x3f62ad3f, v9
	s_delay_alu instid0(VALU_DEP_3) | instskip(NEXT) | instid1(VALU_DEP_3)
	v_add_f32_e32 v7, v0, v11
	v_dual_fmamk_f32 v11, v57, 0xbeedf032, v12 :: v_dual_add_f32 v0, v8, v20
	s_delay_alu instid0(VALU_DEP_3) | instskip(SKIP_2) | instid1(VALU_DEP_4)
	v_add_f32_e32 v8, v10, v15
	v_fma_f32 v10, 0x3f62ad3f, v56, -v9
	v_fmac_f32_e32 v12, 0x3eedf032, v57
	v_add_f32_e32 v9, v11, v17
	v_fmamk_f32 v15, v56, 0xbf3f9e67, v13
	s_delay_alu instid0(VALU_DEP_4) | instskip(NEXT) | instid1(VALU_DEP_4)
	v_dual_mul_f32 v17, 0xbf3f9e67, v60 :: v_dual_add_f32 v10, v10, v14
	v_dual_add_f32 v11, v12, v16 :: v_dual_mul_f32 v20, 0x3f52af12, v55
	s_delay_alu instid0(VALU_DEP_3) | instskip(NEXT) | instid1(VALU_DEP_3)
	v_add_f32_e32 v12, v15, v18
	v_fmamk_f32 v14, v57, 0x3f29c268, v17
	v_fma_f32 v15, 0xbf3f9e67, v56, -v13
	v_fmac_f32_e32 v17, 0xbf29c268, v57
	v_fmamk_f32 v16, v56, 0x3f116cb1, v20
	v_fma_f32 v18, 0x3f116cb1, v56, -v20
	s_delay_alu instid0(VALU_DEP_4) | instskip(NEXT) | instid1(VALU_DEP_4)
	v_dual_add_f32 v13, v14, v24 :: v_dual_add_f32 v14, v15, v23
	v_dual_add_f32 v15, v17, v22 :: v_dual_mul_f32 v22, 0xbf6f5d39, v55
	s_delay_alu instid0(VALU_DEP_3) | instskip(SKIP_1) | instid1(VALU_DEP_3)
	v_dual_mul_f32 v23, 0xbeb58ec6, v60 :: v_dual_add_f32 v18, v18, v19
	v_add_f32_e32 v16, v16, v25
	v_fmamk_f32 v20, v56, 0xbeb58ec6, v22
	v_fma_f32 v22, 0xbeb58ec6, v56, -v22
	s_delay_alu instid0(VALU_DEP_2) | instskip(NEXT) | instid1(VALU_DEP_2)
	v_add_f32_e32 v20, v20, v54
	v_add_f32_e32 v22, v22, v50
	v_mul_f32_e32 v24, 0x3f7e222b, v55
	v_fmac_f32_e32 v1, 0xbe750f2a, v57
	s_delay_alu instid0(VALU_DEP_2) | instskip(NEXT) | instid1(VALU_DEP_2)
	v_fmamk_f32 v25, v56, 0x3df6dbef, v24
	v_add_f32_e32 v1, v1, v21
	v_mul_f32_e32 v21, 0x3f116cb1, v60
	v_fma_f32 v50, 0x3df6dbef, v56, -v24
	s_delay_alu instid0(VALU_DEP_4) | instskip(NEXT) | instid1(VALU_DEP_3)
	v_add_f32_e32 v24, v25, v52
	v_fmamk_f32 v17, v57, 0xbf52af12, v21
	v_fmac_f32_e32 v21, 0x3f52af12, v57
	s_delay_alu instid0(VALU_DEP_2) | instskip(NEXT) | instid1(VALU_DEP_2)
	v_add_f32_e32 v17, v17, v27
	v_add_f32_e32 v19, v21, v59
	v_fmamk_f32 v21, v57, 0x3f6f5d39, v23
	v_mul_f32_e32 v27, 0x3df6dbef, v60
	v_fmac_f32_e32 v23, 0xbf6f5d39, v57
	s_delay_alu instid0(VALU_DEP_3) | instskip(NEXT) | instid1(VALU_DEP_3)
	v_add_f32_e32 v21, v21, v49
	v_fmamk_f32 v49, v57, 0xbf7e222b, v27
	v_fmac_f32_e32 v27, 0x3f7e222b, v57
	s_delay_alu instid0(VALU_DEP_4) | instskip(NEXT) | instid1(VALU_DEP_3)
	v_add_f32_e32 v23, v23, v51
	v_dual_add_f32 v25, v49, v26 :: v_dual_add_f32 v26, v50, v53
	s_delay_alu instid0(VALU_DEP_3)
	v_dual_add_f32 v27, v27, v61 :: v_dual_add_nc_u32 v50, 0x400, v95
	v_add_nc_u32_e32 v49, 0x1000, v95
	ds_store_2addr_b64 v97, v[4:5], v[6:7] offset1:17
	ds_store_2addr_b64 v97, v[8:9], v[12:13] offset0:34 offset1:51
	ds_store_2addr_b64 v97, v[16:17], v[20:21] offset0:68 offset1:85
	;; [unrolled: 1-line block ×5, first 2 shown]
	ds_store_b64 v97, v[0:1] offset:1632
	global_wb scope:SCOPE_SE
	s_wait_dscnt 0x0
	s_barrier_signal -1
	s_barrier_wait -1
	global_inv scope:SCOPE_SE
	ds_load_2addr_b64 v[4:7], v95 offset1:51
	ds_load_2addr_b64 v[24:27], v50 offset0:93 offset1:144
	ds_load_2addr_b64 v[20:23], v48 offset0:186 offset1:237
	;; [unrolled: 1-line block ×5, first 2 shown]
	s_and_saveexec_b32 s1, s0
	s_cbranch_execz .LBB0_19
; %bb.18:
	v_add_nc_u32_e32 v0, 0x600, v95
	ds_load_2addr_b64 v[0:3], v0 offset0:12 offset1:233
	ds_load_b64 v[81:82], v95 offset:5168
.LBB0_19:
	s_wait_alu 0xfffe
	s_or_b32 exec_lo, exec_lo, s1
	s_wait_dscnt 0x3
	v_mul_f32_e32 v52, v39, v21
	v_mul_f32_e32 v51, v37, v25
	;; [unrolled: 1-line block ×4, first 2 shown]
	s_delay_alu instid0(VALU_DEP_4) | instskip(NEXT) | instid1(VALU_DEP_4)
	v_fmac_f32_e32 v52, v38, v20
	v_dual_mul_f32 v20, v45, v26 :: v_dual_fmac_f32 v51, v36, v24
	s_delay_alu instid0(VALU_DEP_4) | instskip(SKIP_2) | instid1(VALU_DEP_4)
	v_fma_f32 v24, v36, v25, -v37
	v_mul_f32_e32 v25, v45, v27
	v_mul_f32_e32 v36, v47, v23
	v_fma_f32 v20, v44, v27, -v20
	s_wait_dscnt 0x1
	v_mul_f32_e32 v27, v41, v17
	v_fma_f32 v21, v38, v21, -v39
	v_fmac_f32_e32 v25, v44, v26
	v_mul_f32_e32 v26, v47, v22
	v_fmac_f32_e32 v36, v46, v22
	v_mul_f32_e32 v22, v41, v16
	v_fmac_f32_e32 v27, v40, v16
	s_wait_dscnt 0x0
	v_dual_mul_f32 v16, v43, v12 :: v_dual_mul_f32 v37, v33, v19
	v_fma_f32 v23, v46, v23, -v26
	v_mul_f32_e32 v26, v43, v13
	v_mul_f32_e32 v38, v35, v15
	v_fma_f32 v22, v40, v17, -v22
	v_fmac_f32_e32 v37, v32, v18
	v_sub_f32_e32 v17, v51, v52
	v_fmac_f32_e32 v26, v42, v12
	v_mul_f32_e32 v12, v33, v18
	v_fma_f32 v33, v42, v13, -v16
	v_mul_f32_e32 v13, v35, v14
	v_fmac_f32_e32 v38, v34, v14
	v_add_f32_e32 v14, v4, v51
	v_add_f32_e32 v16, v5, v24
	;; [unrolled: 1-line block ×3, first 2 shown]
	v_fma_f32 v34, v34, v15, -v13
	v_add_f32_e32 v13, v24, v21
	v_fma_f32 v32, v32, v19, -v12
	v_dual_add_f32 v12, v51, v52 :: v_dual_sub_f32 v15, v24, v21
	v_sub_f32_e32 v19, v20, v23
	s_delay_alu instid0(VALU_DEP_4) | instskip(SKIP_1) | instid1(VALU_DEP_4)
	v_fma_f32 v5, -0.5, v13, v5
	v_add_f32_e32 v13, v16, v21
	v_fma_f32 v4, -0.5, v12, v4
	v_add_f32_e32 v12, v14, v52
	v_add_f32_e32 v16, v25, v36
	v_dual_sub_f32 v21, v25, v36 :: v_dual_sub_f32 v24, v22, v33
	s_delay_alu instid0(VALU_DEP_4)
	v_fmamk_f32 v14, v15, 0xbf5db3d7, v4
	v_dual_fmac_f32 v4, 0x3f5db3d7, v15 :: v_dual_fmamk_f32 v15, v17, 0x3f5db3d7, v5
	v_fmac_f32_e32 v5, 0xbf5db3d7, v17
	v_add_f32_e32 v17, v20, v23
	v_fma_f32 v6, -0.5, v16, v6
	v_add_f32_e32 v20, v7, v20
	s_delay_alu instid0(VALU_DEP_3) | instskip(NEXT) | instid1(VALU_DEP_3)
	v_dual_add_f32 v16, v18, v36 :: v_dual_fmac_f32 v7, -0.5, v17
	v_fmamk_f32 v18, v19, 0xbf5db3d7, v6
	s_delay_alu instid0(VALU_DEP_2) | instskip(NEXT) | instid1(VALU_DEP_4)
	v_dual_fmac_f32 v6, 0x3f5db3d7, v19 :: v_dual_fmamk_f32 v19, v21, 0x3f5db3d7, v7
	v_dual_add_f32 v17, v20, v23 :: v_dual_add_f32 v20, v27, v26
	v_fmac_f32_e32 v7, 0xbf5db3d7, v21
	v_add_f32_e32 v23, v8, v27
	v_add_f32_e32 v21, v22, v33
	s_delay_alu instid0(VALU_DEP_4) | instskip(SKIP_1) | instid1(VALU_DEP_4)
	v_fma_f32 v8, -0.5, v20, v8
	v_sub_f32_e32 v25, v27, v26
	v_add_f32_e32 v20, v23, v26
	v_add_f32_e32 v23, v9, v22
	v_fma_f32 v9, -0.5, v21, v9
	v_fmamk_f32 v22, v24, 0xbf5db3d7, v8
	v_fmac_f32_e32 v8, 0x3f5db3d7, v24
	s_delay_alu instid0(VALU_DEP_4) | instskip(NEXT) | instid1(VALU_DEP_4)
	v_dual_add_f32 v24, v37, v38 :: v_dual_add_f32 v21, v23, v33
	v_fmamk_f32 v23, v25, 0x3f5db3d7, v9
	v_fmac_f32_e32 v9, 0xbf5db3d7, v25
	v_dual_add_f32 v25, v32, v34 :: v_dual_add_f32 v26, v10, v37
	s_delay_alu instid0(VALU_DEP_4) | instskip(SKIP_1) | instid1(VALU_DEP_3)
	v_fma_f32 v10, -0.5, v24, v10
	v_dual_sub_f32 v27, v32, v34 :: v_dual_add_f32 v32, v11, v32
	v_dual_fmac_f32 v11, -0.5, v25 :: v_dual_add_f32 v24, v26, v38
	s_delay_alu instid0(VALU_DEP_2) | instskip(NEXT) | instid1(VALU_DEP_3)
	v_dual_sub_f32 v33, v37, v38 :: v_dual_fmamk_f32 v26, v27, 0xbf5db3d7, v10
	v_dual_fmac_f32 v10, 0x3f5db3d7, v27 :: v_dual_add_f32 v25, v32, v34
	s_delay_alu instid0(VALU_DEP_2)
	v_fmamk_f32 v27, v33, 0x3f5db3d7, v11
	v_fmac_f32_e32 v11, 0xbf5db3d7, v33
	ds_store_2addr_b64 v95, v[12:13], v[16:17] offset1:51
	ds_store_2addr_b64 v50, v[14:15], v[18:19] offset0:93 offset1:144
	ds_store_2addr_b64 v48, v[4:5], v[6:7] offset0:186 offset1:237
	;; [unrolled: 1-line block ×5, first 2 shown]
	s_and_saveexec_b32 s1, s0
	s_cbranch_execz .LBB0_21
; %bb.20:
	v_dual_mul_f32 v4, v29, v2 :: v_dual_mul_f32 v5, v31, v81
	v_dual_mul_f32 v6, v29, v3 :: v_dual_mul_f32 v7, v31, v82
	s_delay_alu instid0(VALU_DEP_2) | instskip(NEXT) | instid1(VALU_DEP_3)
	v_fma_f32 v3, v28, v3, -v4
	v_fma_f32 v4, v30, v82, -v5
	s_delay_alu instid0(VALU_DEP_3) | instskip(NEXT) | instid1(VALU_DEP_2)
	v_dual_fmac_f32 v6, v28, v2 :: v_dual_fmac_f32 v7, v30, v81
	v_dual_add_f32 v9, v1, v3 :: v_dual_add_f32 v2, v3, v4
	s_delay_alu instid0(VALU_DEP_2) | instskip(SKIP_2) | instid1(VALU_DEP_4)
	v_add_f32_e32 v5, v6, v7
	v_sub_f32_e32 v8, v6, v7
	v_add_f32_e32 v6, v0, v6
	v_fma_f32 v1, -0.5, v2, v1
	v_sub_f32_e32 v10, v3, v4
	v_fma_f32 v0, -0.5, v5, v0
	s_delay_alu instid0(VALU_DEP_4) | instskip(NEXT) | instid1(VALU_DEP_4)
	v_dual_add_f32 v3, v9, v4 :: v_dual_add_f32 v2, v6, v7
	v_fmamk_f32 v5, v8, 0xbf5db3d7, v1
	s_delay_alu instid0(VALU_DEP_3)
	v_dual_fmac_f32 v1, 0x3f5db3d7, v8 :: v_dual_fmamk_f32 v4, v10, 0x3f5db3d7, v0
	v_add_nc_u32_e32 v6, 0x600, v95
	v_fmac_f32_e32 v0, 0xbf5db3d7, v10
	ds_store_2addr_b64 v6, v[2:3], v[0:1] offset0:12 offset1:233
	ds_store_b64 v95, v[4:5] offset:5168
.LBB0_21:
	s_wait_alu 0xfffe
	s_or_b32 exec_lo, exec_lo, s1
	global_wb scope:SCOPE_SE
	s_wait_dscnt 0x0
	s_barrier_signal -1
	s_barrier_wait -1
	global_inv scope:SCOPE_SE
	s_and_b32 exec_lo, exec_lo, vcc_lo
	s_cbranch_execz .LBB0_23
; %bb.22:
	global_load_b64 v[0:1], v95, s[8:9]
	ds_load_b64 v[2:3], v95
	v_mad_co_u64_u32 v[6:7], null, s4, v96, 0
	s_mov_b32 s0, 0x18b64019
	s_mov_b32 s1, 0x3f58b640
	s_mul_u64 s[2:3], s[4:5], 0x138
	s_wait_loadcnt_dscnt 0x0
	v_mul_f32_e32 v4, v3, v1
	v_mul_f32_e32 v1, v2, v1
	s_delay_alu instid0(VALU_DEP_2) | instskip(NEXT) | instid1(VALU_DEP_2)
	v_fmac_f32_e32 v4, v2, v0
	v_fma_f32 v2, v0, v3, -v1
	s_delay_alu instid0(VALU_DEP_2) | instskip(NEXT) | instid1(VALU_DEP_2)
	v_cvt_f64_f32_e32 v[0:1], v4
	v_cvt_f64_f32_e32 v[2:3], v2
	v_mad_co_u64_u32 v[4:5], null, s6, v76, 0
	s_wait_alu 0xfffe
	s_delay_alu instid0(VALU_DEP_3) | instskip(NEXT) | instid1(VALU_DEP_3)
	v_mul_f64_e32 v[0:1], s[0:1], v[0:1]
	v_mul_f64_e32 v[2:3], s[0:1], v[2:3]
	s_delay_alu instid0(VALU_DEP_2) | instskip(NEXT) | instid1(VALU_DEP_2)
	v_cvt_f32_f64_e32 v0, v[0:1]
	v_cvt_f32_f64_e32 v1, v[2:3]
	v_dual_mov_b32 v3, v7 :: v_dual_mov_b32 v2, v5
	s_delay_alu instid0(VALU_DEP_1) | instskip(SKIP_1) | instid1(VALU_DEP_2)
	v_mad_co_u64_u32 v[7:8], null, s7, v76, v[2:3]
	v_mad_co_u64_u32 v[2:3], null, s5, v96, v[3:4]
	v_mov_b32_e32 v5, v7
	s_delay_alu instid0(VALU_DEP_2) | instskip(NEXT) | instid1(VALU_DEP_2)
	v_mov_b32_e32 v7, v2
	v_lshlrev_b64_e32 v[2:3], 3, v[4:5]
	s_delay_alu instid0(VALU_DEP_2) | instskip(NEXT) | instid1(VALU_DEP_2)
	v_lshlrev_b64_e32 v[4:5], 3, v[6:7]
	v_add_co_u32 v2, vcc_lo, s12, v2
	s_delay_alu instid0(VALU_DEP_3) | instskip(NEXT) | instid1(VALU_DEP_2)
	v_add_co_ci_u32_e32 v3, vcc_lo, s13, v3, vcc_lo
	v_add_co_u32 v4, vcc_lo, v2, v4
	s_wait_alu 0xfffd
	s_delay_alu instid0(VALU_DEP_2)
	v_add_co_ci_u32_e32 v5, vcc_lo, v3, v5, vcc_lo
	global_store_b64 v[4:5], v[0:1], off
	global_load_b64 v[6:7], v95, s[8:9] offset:312
	ds_load_2addr_b64 v[0:3], v95 offset0:39 offset1:78
	v_add_co_u32 v4, vcc_lo, v4, s2
	s_wait_alu 0xfffd
	v_add_co_ci_u32_e32 v5, vcc_lo, s3, v5, vcc_lo
	s_wait_loadcnt_dscnt 0x0
	v_mul_f32_e32 v8, v1, v7
	v_mul_f32_e32 v7, v0, v7
	s_delay_alu instid0(VALU_DEP_2) | instskip(NEXT) | instid1(VALU_DEP_2)
	v_fmac_f32_e32 v8, v0, v6
	v_fma_f32 v6, v6, v1, -v7
	s_delay_alu instid0(VALU_DEP_2) | instskip(NEXT) | instid1(VALU_DEP_2)
	v_cvt_f64_f32_e32 v[0:1], v8
	v_cvt_f64_f32_e32 v[6:7], v6
	s_delay_alu instid0(VALU_DEP_2) | instskip(NEXT) | instid1(VALU_DEP_2)
	v_mul_f64_e32 v[0:1], s[0:1], v[0:1]
	v_mul_f64_e32 v[6:7], s[0:1], v[6:7]
	s_delay_alu instid0(VALU_DEP_2) | instskip(NEXT) | instid1(VALU_DEP_2)
	v_cvt_f32_f64_e32 v0, v[0:1]
	v_cvt_f32_f64_e32 v1, v[6:7]
	global_store_b64 v[4:5], v[0:1], off
	global_load_b64 v[0:1], v95, s[8:9] offset:624
	v_add_co_u32 v4, vcc_lo, v4, s2
	s_wait_alu 0xfffd
	v_add_co_ci_u32_e32 v5, vcc_lo, s3, v5, vcc_lo
	s_wait_loadcnt 0x0
	v_mul_f32_e32 v6, v3, v1
	v_mul_f32_e32 v1, v2, v1
	s_delay_alu instid0(VALU_DEP_2) | instskip(NEXT) | instid1(VALU_DEP_2)
	v_fmac_f32_e32 v6, v2, v0
	v_fma_f32 v2, v0, v3, -v1
	s_delay_alu instid0(VALU_DEP_2) | instskip(NEXT) | instid1(VALU_DEP_2)
	v_cvt_f64_f32_e32 v[0:1], v6
	v_cvt_f64_f32_e32 v[2:3], v2
	s_delay_alu instid0(VALU_DEP_2) | instskip(NEXT) | instid1(VALU_DEP_2)
	v_mul_f64_e32 v[0:1], s[0:1], v[0:1]
	v_mul_f64_e32 v[2:3], s[0:1], v[2:3]
	s_delay_alu instid0(VALU_DEP_2) | instskip(NEXT) | instid1(VALU_DEP_2)
	v_cvt_f32_f64_e32 v0, v[0:1]
	v_cvt_f32_f64_e32 v1, v[2:3]
	global_store_b64 v[4:5], v[0:1], off
	global_load_b64 v[6:7], v95, s[8:9] offset:936
	ds_load_2addr_b64 v[0:3], v95 offset0:117 offset1:156
	v_add_co_u32 v4, vcc_lo, v4, s2
	s_wait_alu 0xfffd
	v_add_co_ci_u32_e32 v5, vcc_lo, s3, v5, vcc_lo
	s_wait_loadcnt_dscnt 0x0
	v_mul_f32_e32 v8, v1, v7
	v_mul_f32_e32 v7, v0, v7
	s_delay_alu instid0(VALU_DEP_2) | instskip(NEXT) | instid1(VALU_DEP_2)
	v_fmac_f32_e32 v8, v0, v6
	v_fma_f32 v6, v6, v1, -v7
	s_delay_alu instid0(VALU_DEP_2) | instskip(NEXT) | instid1(VALU_DEP_2)
	v_cvt_f64_f32_e32 v[0:1], v8
	v_cvt_f64_f32_e32 v[6:7], v6
	s_delay_alu instid0(VALU_DEP_2) | instskip(NEXT) | instid1(VALU_DEP_2)
	v_mul_f64_e32 v[0:1], s[0:1], v[0:1]
	v_mul_f64_e32 v[6:7], s[0:1], v[6:7]
	s_delay_alu instid0(VALU_DEP_2) | instskip(NEXT) | instid1(VALU_DEP_2)
	v_cvt_f32_f64_e32 v0, v[0:1]
	v_cvt_f32_f64_e32 v1, v[6:7]
	global_store_b64 v[4:5], v[0:1], off
	global_load_b64 v[0:1], v95, s[8:9] offset:1248
	v_add_co_u32 v4, vcc_lo, v4, s2
	s_wait_alu 0xfffd
	v_add_co_ci_u32_e32 v5, vcc_lo, s3, v5, vcc_lo
	s_wait_loadcnt 0x0
	v_mul_f32_e32 v6, v3, v1
	v_mul_f32_e32 v1, v2, v1
	s_delay_alu instid0(VALU_DEP_2) | instskip(NEXT) | instid1(VALU_DEP_2)
	v_fmac_f32_e32 v6, v2, v0
	v_fma_f32 v2, v0, v3, -v1
	s_delay_alu instid0(VALU_DEP_2) | instskip(NEXT) | instid1(VALU_DEP_2)
	v_cvt_f64_f32_e32 v[0:1], v6
	v_cvt_f64_f32_e32 v[2:3], v2
	s_delay_alu instid0(VALU_DEP_2) | instskip(NEXT) | instid1(VALU_DEP_2)
	v_mul_f64_e32 v[0:1], s[0:1], v[0:1]
	v_mul_f64_e32 v[2:3], s[0:1], v[2:3]
	s_delay_alu instid0(VALU_DEP_2) | instskip(NEXT) | instid1(VALU_DEP_2)
	v_cvt_f32_f64_e32 v0, v[0:1]
	v_cvt_f32_f64_e32 v1, v[2:3]
	global_store_b64 v[4:5], v[0:1], off
	global_load_b64 v[6:7], v95, s[8:9] offset:1560
	ds_load_2addr_b64 v[0:3], v95 offset0:195 offset1:234
	v_add_co_u32 v4, vcc_lo, v4, s2
	s_wait_alu 0xfffd
	v_add_co_ci_u32_e32 v5, vcc_lo, s3, v5, vcc_lo
	s_wait_loadcnt_dscnt 0x0
	v_mul_f32_e32 v8, v1, v7
	v_mul_f32_e32 v7, v0, v7
	s_delay_alu instid0(VALU_DEP_2) | instskip(NEXT) | instid1(VALU_DEP_2)
	v_fmac_f32_e32 v8, v0, v6
	v_fma_f32 v6, v6, v1, -v7
	s_delay_alu instid0(VALU_DEP_2) | instskip(NEXT) | instid1(VALU_DEP_2)
	v_cvt_f64_f32_e32 v[0:1], v8
	v_cvt_f64_f32_e32 v[6:7], v6
	v_add_nc_u32_e32 v8, 0x800, v95
	s_delay_alu instid0(VALU_DEP_3) | instskip(NEXT) | instid1(VALU_DEP_3)
	v_mul_f64_e32 v[0:1], s[0:1], v[0:1]
	v_mul_f64_e32 v[6:7], s[0:1], v[6:7]
	s_delay_alu instid0(VALU_DEP_2) | instskip(NEXT) | instid1(VALU_DEP_2)
	v_cvt_f32_f64_e32 v0, v[0:1]
	v_cvt_f32_f64_e32 v1, v[6:7]
	global_store_b64 v[4:5], v[0:1], off
	global_load_b64 v[0:1], v95, s[8:9] offset:1872
	v_add_co_u32 v4, vcc_lo, v4, s2
	s_wait_alu 0xfffd
	v_add_co_ci_u32_e32 v5, vcc_lo, s3, v5, vcc_lo
	s_wait_loadcnt 0x0
	v_mul_f32_e32 v6, v3, v1
	v_mul_f32_e32 v1, v2, v1
	s_delay_alu instid0(VALU_DEP_2) | instskip(NEXT) | instid1(VALU_DEP_2)
	v_fmac_f32_e32 v6, v2, v0
	v_fma_f32 v2, v0, v3, -v1
	s_delay_alu instid0(VALU_DEP_2) | instskip(NEXT) | instid1(VALU_DEP_2)
	v_cvt_f64_f32_e32 v[0:1], v6
	v_cvt_f64_f32_e32 v[2:3], v2
	s_delay_alu instid0(VALU_DEP_2) | instskip(NEXT) | instid1(VALU_DEP_2)
	v_mul_f64_e32 v[0:1], s[0:1], v[0:1]
	v_mul_f64_e32 v[2:3], s[0:1], v[2:3]
	s_delay_alu instid0(VALU_DEP_2) | instskip(NEXT) | instid1(VALU_DEP_2)
	v_cvt_f32_f64_e32 v0, v[0:1]
	v_cvt_f32_f64_e32 v1, v[2:3]
	global_store_b64 v[4:5], v[0:1], off
	global_load_b64 v[6:7], v95, s[8:9] offset:2184
	ds_load_2addr_b64 v[0:3], v8 offset0:17 offset1:56
	v_add_co_u32 v4, vcc_lo, v4, s2
	s_wait_alu 0xfffd
	v_add_co_ci_u32_e32 v5, vcc_lo, s3, v5, vcc_lo
	s_wait_loadcnt_dscnt 0x0
	v_mul_f32_e32 v9, v1, v7
	v_mul_f32_e32 v7, v0, v7
	s_delay_alu instid0(VALU_DEP_2) | instskip(NEXT) | instid1(VALU_DEP_2)
	v_fmac_f32_e32 v9, v0, v6
	v_fma_f32 v6, v6, v1, -v7
	s_delay_alu instid0(VALU_DEP_2) | instskip(NEXT) | instid1(VALU_DEP_2)
	v_cvt_f64_f32_e32 v[0:1], v9
	v_cvt_f64_f32_e32 v[6:7], v6
	s_delay_alu instid0(VALU_DEP_2) | instskip(NEXT) | instid1(VALU_DEP_2)
	v_mul_f64_e32 v[0:1], s[0:1], v[0:1]
	v_mul_f64_e32 v[6:7], s[0:1], v[6:7]
	s_delay_alu instid0(VALU_DEP_2) | instskip(NEXT) | instid1(VALU_DEP_2)
	v_cvt_f32_f64_e32 v0, v[0:1]
	v_cvt_f32_f64_e32 v1, v[6:7]
	global_store_b64 v[4:5], v[0:1], off
	global_load_b64 v[0:1], v95, s[8:9] offset:2496
	v_add_co_u32 v4, vcc_lo, v4, s2
	s_wait_alu 0xfffd
	v_add_co_ci_u32_e32 v5, vcc_lo, s3, v5, vcc_lo
	s_wait_loadcnt 0x0
	v_mul_f32_e32 v6, v3, v1
	v_mul_f32_e32 v1, v2, v1
	s_delay_alu instid0(VALU_DEP_2) | instskip(NEXT) | instid1(VALU_DEP_2)
	v_fmac_f32_e32 v6, v2, v0
	v_fma_f32 v2, v0, v3, -v1
	s_delay_alu instid0(VALU_DEP_2) | instskip(NEXT) | instid1(VALU_DEP_2)
	v_cvt_f64_f32_e32 v[0:1], v6
	v_cvt_f64_f32_e32 v[2:3], v2
	s_delay_alu instid0(VALU_DEP_2) | instskip(NEXT) | instid1(VALU_DEP_2)
	v_mul_f64_e32 v[0:1], s[0:1], v[0:1]
	v_mul_f64_e32 v[2:3], s[0:1], v[2:3]
	s_delay_alu instid0(VALU_DEP_2) | instskip(NEXT) | instid1(VALU_DEP_2)
	v_cvt_f32_f64_e32 v0, v[0:1]
	v_cvt_f32_f64_e32 v1, v[2:3]
	global_store_b64 v[4:5], v[0:1], off
	global_load_b64 v[6:7], v95, s[8:9] offset:2808
	ds_load_2addr_b64 v[0:3], v8 offset0:95 offset1:134
	v_add_co_u32 v4, vcc_lo, v4, s2
	s_wait_alu 0xfffd
	v_add_co_ci_u32_e32 v5, vcc_lo, s3, v5, vcc_lo
	s_wait_loadcnt_dscnt 0x0
	v_mul_f32_e32 v9, v1, v7
	v_mul_f32_e32 v7, v0, v7
	s_delay_alu instid0(VALU_DEP_2) | instskip(NEXT) | instid1(VALU_DEP_2)
	v_fmac_f32_e32 v9, v0, v6
	v_fma_f32 v6, v6, v1, -v7
	s_delay_alu instid0(VALU_DEP_2) | instskip(NEXT) | instid1(VALU_DEP_2)
	v_cvt_f64_f32_e32 v[0:1], v9
	v_cvt_f64_f32_e32 v[6:7], v6
	s_delay_alu instid0(VALU_DEP_2) | instskip(NEXT) | instid1(VALU_DEP_2)
	;; [unrolled: 41-line block ×3, first 2 shown]
	v_mul_f64_e32 v[0:1], s[0:1], v[0:1]
	v_mul_f64_e32 v[6:7], s[0:1], v[6:7]
	s_delay_alu instid0(VALU_DEP_2) | instskip(NEXT) | instid1(VALU_DEP_2)
	v_cvt_f32_f64_e32 v0, v[0:1]
	v_cvt_f32_f64_e32 v1, v[6:7]
	global_store_b64 v[4:5], v[0:1], off
	global_load_b64 v[0:1], v95, s[8:9] offset:3744
	v_add_co_u32 v4, vcc_lo, v4, s2
	s_wait_alu 0xfffd
	v_add_co_ci_u32_e32 v5, vcc_lo, s3, v5, vcc_lo
	s_wait_loadcnt 0x0
	v_mul_f32_e32 v6, v3, v1
	v_mul_f32_e32 v1, v2, v1
	s_delay_alu instid0(VALU_DEP_2) | instskip(NEXT) | instid1(VALU_DEP_2)
	v_fmac_f32_e32 v6, v2, v0
	v_fma_f32 v2, v0, v3, -v1
	s_delay_alu instid0(VALU_DEP_2) | instskip(NEXT) | instid1(VALU_DEP_2)
	v_cvt_f64_f32_e32 v[0:1], v6
	v_cvt_f64_f32_e32 v[2:3], v2
	s_delay_alu instid0(VALU_DEP_2) | instskip(NEXT) | instid1(VALU_DEP_2)
	v_mul_f64_e32 v[0:1], s[0:1], v[0:1]
	v_mul_f64_e32 v[2:3], s[0:1], v[2:3]
	s_delay_alu instid0(VALU_DEP_2) | instskip(NEXT) | instid1(VALU_DEP_2)
	v_cvt_f32_f64_e32 v0, v[0:1]
	v_cvt_f32_f64_e32 v1, v[2:3]
	global_store_b64 v[4:5], v[0:1], off
	global_load_b64 v[6:7], v95, s[8:9] offset:4056
	v_add_nc_u32_e32 v0, 0xc00, v95
	v_add_co_u32 v4, vcc_lo, v4, s2
	s_wait_alu 0xfffd
	v_add_co_ci_u32_e32 v5, vcc_lo, s3, v5, vcc_lo
	ds_load_2addr_b64 v[0:3], v0 offset0:123 offset1:162
	s_wait_loadcnt_dscnt 0x0
	v_mul_f32_e32 v8, v1, v7
	v_mul_f32_e32 v7, v0, v7
	s_delay_alu instid0(VALU_DEP_2) | instskip(NEXT) | instid1(VALU_DEP_2)
	v_fmac_f32_e32 v8, v0, v6
	v_fma_f32 v6, v6, v1, -v7
	s_delay_alu instid0(VALU_DEP_2) | instskip(NEXT) | instid1(VALU_DEP_2)
	v_cvt_f64_f32_e32 v[0:1], v8
	v_cvt_f64_f32_e32 v[6:7], v6
	s_delay_alu instid0(VALU_DEP_2) | instskip(NEXT) | instid1(VALU_DEP_2)
	v_mul_f64_e32 v[0:1], s[0:1], v[0:1]
	v_mul_f64_e32 v[6:7], s[0:1], v[6:7]
	s_delay_alu instid0(VALU_DEP_2) | instskip(NEXT) | instid1(VALU_DEP_2)
	v_cvt_f32_f64_e32 v0, v[0:1]
	v_cvt_f32_f64_e32 v1, v[6:7]
	global_store_b64 v[4:5], v[0:1], off
	global_load_b64 v[0:1], v95, s[8:9] offset:4368
	v_add_co_u32 v4, vcc_lo, v4, s2
	s_wait_alu 0xfffd
	v_add_co_ci_u32_e32 v5, vcc_lo, s3, v5, vcc_lo
	s_wait_loadcnt 0x0
	v_mul_f32_e32 v6, v3, v1
	v_mul_f32_e32 v1, v2, v1
	s_delay_alu instid0(VALU_DEP_2) | instskip(NEXT) | instid1(VALU_DEP_2)
	v_fmac_f32_e32 v6, v2, v0
	v_fma_f32 v2, v0, v3, -v1
	s_delay_alu instid0(VALU_DEP_2) | instskip(NEXT) | instid1(VALU_DEP_2)
	v_cvt_f64_f32_e32 v[0:1], v6
	v_cvt_f64_f32_e32 v[2:3], v2
	s_delay_alu instid0(VALU_DEP_2) | instskip(NEXT) | instid1(VALU_DEP_2)
	v_mul_f64_e32 v[0:1], s[0:1], v[0:1]
	v_mul_f64_e32 v[2:3], s[0:1], v[2:3]
	s_delay_alu instid0(VALU_DEP_2) | instskip(NEXT) | instid1(VALU_DEP_2)
	v_cvt_f32_f64_e32 v0, v[0:1]
	v_cvt_f32_f64_e32 v1, v[2:3]
	global_store_b64 v[4:5], v[0:1], off
	global_load_b64 v[6:7], v95, s[8:9] offset:4680
	v_add_nc_u32_e32 v0, 0x1000, v95
	v_add_co_u32 v4, vcc_lo, v4, s2
	s_wait_alu 0xfffd
	v_add_co_ci_u32_e32 v5, vcc_lo, s3, v5, vcc_lo
	ds_load_2addr_b64 v[0:3], v0 offset0:73 offset1:112
	s_wait_loadcnt_dscnt 0x0
	v_mul_f32_e32 v8, v1, v7
	v_mul_f32_e32 v7, v0, v7
	s_delay_alu instid0(VALU_DEP_2) | instskip(NEXT) | instid1(VALU_DEP_2)
	v_fmac_f32_e32 v8, v0, v6
	v_fma_f32 v6, v6, v1, -v7
	s_delay_alu instid0(VALU_DEP_2) | instskip(NEXT) | instid1(VALU_DEP_2)
	v_cvt_f64_f32_e32 v[0:1], v8
	v_cvt_f64_f32_e32 v[6:7], v6
	s_delay_alu instid0(VALU_DEP_2) | instskip(NEXT) | instid1(VALU_DEP_2)
	v_mul_f64_e32 v[0:1], s[0:1], v[0:1]
	v_mul_f64_e32 v[6:7], s[0:1], v[6:7]
	s_delay_alu instid0(VALU_DEP_2) | instskip(NEXT) | instid1(VALU_DEP_2)
	v_cvt_f32_f64_e32 v0, v[0:1]
	v_cvt_f32_f64_e32 v1, v[6:7]
	global_store_b64 v[4:5], v[0:1], off
	global_load_b64 v[0:1], v95, s[8:9] offset:4992
	s_wait_loadcnt 0x0
	v_mul_f32_e32 v6, v3, v1
	v_mul_f32_e32 v1, v2, v1
	s_delay_alu instid0(VALU_DEP_2) | instskip(NEXT) | instid1(VALU_DEP_2)
	v_fmac_f32_e32 v6, v2, v0
	v_fma_f32 v2, v0, v3, -v1
	s_delay_alu instid0(VALU_DEP_2) | instskip(NEXT) | instid1(VALU_DEP_2)
	v_cvt_f64_f32_e32 v[0:1], v6
	v_cvt_f64_f32_e32 v[2:3], v2
	s_delay_alu instid0(VALU_DEP_2) | instskip(NEXT) | instid1(VALU_DEP_2)
	v_mul_f64_e32 v[0:1], s[0:1], v[0:1]
	v_mul_f64_e32 v[2:3], s[0:1], v[2:3]
	s_delay_alu instid0(VALU_DEP_2) | instskip(NEXT) | instid1(VALU_DEP_2)
	v_cvt_f32_f64_e32 v0, v[0:1]
	v_cvt_f32_f64_e32 v1, v[2:3]
	v_add_co_u32 v2, vcc_lo, v4, s2
	s_wait_alu 0xfffd
	v_add_co_ci_u32_e32 v3, vcc_lo, s3, v5, vcc_lo
	global_store_b64 v[2:3], v[0:1], off
.LBB0_23:
	s_nop 0
	s_sendmsg sendmsg(MSG_DEALLOC_VGPRS)
	s_endpgm
	.section	.rodata,"a",@progbits
	.p2align	6, 0x0
	.amdhsa_kernel bluestein_single_fwd_len663_dim1_sp_op_CI_CI
		.amdhsa_group_segment_fixed_size 5304
		.amdhsa_private_segment_fixed_size 0
		.amdhsa_kernarg_size 104
		.amdhsa_user_sgpr_count 2
		.amdhsa_user_sgpr_dispatch_ptr 0
		.amdhsa_user_sgpr_queue_ptr 0
		.amdhsa_user_sgpr_kernarg_segment_ptr 1
		.amdhsa_user_sgpr_dispatch_id 0
		.amdhsa_user_sgpr_private_segment_size 0
		.amdhsa_wavefront_size32 1
		.amdhsa_uses_dynamic_stack 0
		.amdhsa_enable_private_segment 0
		.amdhsa_system_sgpr_workgroup_id_x 1
		.amdhsa_system_sgpr_workgroup_id_y 0
		.amdhsa_system_sgpr_workgroup_id_z 0
		.amdhsa_system_sgpr_workgroup_info 0
		.amdhsa_system_vgpr_workitem_id 0
		.amdhsa_next_free_vgpr 233
		.amdhsa_next_free_sgpr 14
		.amdhsa_reserve_vcc 1
		.amdhsa_float_round_mode_32 0
		.amdhsa_float_round_mode_16_64 0
		.amdhsa_float_denorm_mode_32 3
		.amdhsa_float_denorm_mode_16_64 3
		.amdhsa_fp16_overflow 0
		.amdhsa_workgroup_processor_mode 1
		.amdhsa_memory_ordered 1
		.amdhsa_forward_progress 0
		.amdhsa_round_robin_scheduling 0
		.amdhsa_exception_fp_ieee_invalid_op 0
		.amdhsa_exception_fp_denorm_src 0
		.amdhsa_exception_fp_ieee_div_zero 0
		.amdhsa_exception_fp_ieee_overflow 0
		.amdhsa_exception_fp_ieee_underflow 0
		.amdhsa_exception_fp_ieee_inexact 0
		.amdhsa_exception_int_div_zero 0
	.end_amdhsa_kernel
	.text
.Lfunc_end0:
	.size	bluestein_single_fwd_len663_dim1_sp_op_CI_CI, .Lfunc_end0-bluestein_single_fwd_len663_dim1_sp_op_CI_CI
                                        ; -- End function
	.section	.AMDGPU.csdata,"",@progbits
; Kernel info:
; codeLenInByte = 24112
; NumSgprs: 16
; NumVgprs: 233
; ScratchSize: 0
; MemoryBound: 0
; FloatMode: 240
; IeeeMode: 1
; LDSByteSize: 5304 bytes/workgroup (compile time only)
; SGPRBlocks: 1
; VGPRBlocks: 29
; NumSGPRsForWavesPerEU: 16
; NumVGPRsForWavesPerEU: 233
; Occupancy: 6
; WaveLimiterHint : 1
; COMPUTE_PGM_RSRC2:SCRATCH_EN: 0
; COMPUTE_PGM_RSRC2:USER_SGPR: 2
; COMPUTE_PGM_RSRC2:TRAP_HANDLER: 0
; COMPUTE_PGM_RSRC2:TGID_X_EN: 1
; COMPUTE_PGM_RSRC2:TGID_Y_EN: 0
; COMPUTE_PGM_RSRC2:TGID_Z_EN: 0
; COMPUTE_PGM_RSRC2:TIDIG_COMP_CNT: 0
	.text
	.p2alignl 7, 3214868480
	.fill 96, 4, 3214868480
	.type	__hip_cuid_6a8db1eb6c13ac82,@object ; @__hip_cuid_6a8db1eb6c13ac82
	.section	.bss,"aw",@nobits
	.globl	__hip_cuid_6a8db1eb6c13ac82
__hip_cuid_6a8db1eb6c13ac82:
	.byte	0                               ; 0x0
	.size	__hip_cuid_6a8db1eb6c13ac82, 1

	.ident	"AMD clang version 19.0.0git (https://github.com/RadeonOpenCompute/llvm-project roc-6.4.0 25133 c7fe45cf4b819c5991fe208aaa96edf142730f1d)"
	.section	".note.GNU-stack","",@progbits
	.addrsig
	.addrsig_sym __hip_cuid_6a8db1eb6c13ac82
	.amdgpu_metadata
---
amdhsa.kernels:
  - .args:
      - .actual_access:  read_only
        .address_space:  global
        .offset:         0
        .size:           8
        .value_kind:     global_buffer
      - .actual_access:  read_only
        .address_space:  global
        .offset:         8
        .size:           8
        .value_kind:     global_buffer
      - .actual_access:  read_only
        .address_space:  global
        .offset:         16
        .size:           8
        .value_kind:     global_buffer
      - .actual_access:  read_only
        .address_space:  global
        .offset:         24
        .size:           8
        .value_kind:     global_buffer
      - .actual_access:  read_only
        .address_space:  global
        .offset:         32
        .size:           8
        .value_kind:     global_buffer
      - .offset:         40
        .size:           8
        .value_kind:     by_value
      - .address_space:  global
        .offset:         48
        .size:           8
        .value_kind:     global_buffer
      - .address_space:  global
        .offset:         56
        .size:           8
        .value_kind:     global_buffer
      - .address_space:  global
        .offset:         64
        .size:           8
        .value_kind:     global_buffer
      - .address_space:  global
        .offset:         72
        .size:           8
        .value_kind:     global_buffer
      - .offset:         80
        .size:           4
        .value_kind:     by_value
      - .address_space:  global
        .offset:         88
        .size:           8
        .value_kind:     global_buffer
      - .address_space:  global
        .offset:         96
        .size:           8
        .value_kind:     global_buffer
    .group_segment_fixed_size: 5304
    .kernarg_segment_align: 8
    .kernarg_segment_size: 104
    .language:       OpenCL C
    .language_version:
      - 2
      - 0
    .max_flat_workgroup_size: 51
    .name:           bluestein_single_fwd_len663_dim1_sp_op_CI_CI
    .private_segment_fixed_size: 0
    .sgpr_count:     16
    .sgpr_spill_count: 0
    .symbol:         bluestein_single_fwd_len663_dim1_sp_op_CI_CI.kd
    .uniform_work_group_size: 1
    .uses_dynamic_stack: false
    .vgpr_count:     233
    .vgpr_spill_count: 0
    .wavefront_size: 32
    .workgroup_processor_mode: 1
amdhsa.target:   amdgcn-amd-amdhsa--gfx1201
amdhsa.version:
  - 1
  - 2
...

	.end_amdgpu_metadata
